;; amdgpu-corpus repo=ROCm/aiter kind=harvested arch=n/a opt=n/a

/root/src/amdgpu-assembly/repos/ROCm__aiter/hsa/gfx942/fmoe/silu/fmoe_bf16_pertokenInt8_g1u1_vs_silu_1tg_ps_32x512.co:	file format elf64-amdgpu

Disassembly of section .text:

0000000000002e00 <_ZN5aiter49fmoe_bf16_pertokenInt8_g1u1_vs_silu_1tg_ps_32x512E>:
	v_lshrrev_b32_e32 v1, 10, v0                               // 000000002E00: 2002008A
	v_lshrrev_b32_e32 v2, 10, v1                               // 000000002E04: 2004028A
	v_and_b32_e32 v2, 0x3ff, v2                                // 000000002E08: 260404FF 000003FF
	v_and_b32_e32 v1, 0x3ff, v1                                // 000000002E10: 260202FF 000003FF
	v_and_b32_e32 v0, 0x3ff, v0                                // 000000002E18: 260000FF 000003FF
	v_lshrrev_b32_e32 v3, 6, v0                                // 000000002E20: 20060086
	v_and_b32_e32 v0, 63, v0                                   // 000000002E24: 260000BF
	s_mov_b32 s2, s2                                           // 000000002E28: BE820002
	s_mov_b32 s3, s3                                           // 000000002E2C: BE830003
	s_mov_b32 s4, s4                                           // 000000002E30: BE840004
	s_mov_b32 s99, s2                                          // 000000002E34: BEE30002
	v_readfirstlane_b32 s7, v3                                 // 000000002E38: 7E0E0503
	s_and_b32 s1, s1, 0xffff                                   // 000000002E3C: 8601FF01 0000FFFF
	s_mov_b32 s96, 0                                           // 000000002E44: BEE00080
	s_mov_b32 s97, 0                                           // 000000002E48: BEE10080
	s_mov_b32 s100, 0                                          // 000000002E4C: BEE40080
	s_load_dword s96, s[0:1], 0x1a0                            // 000000002E50: C0021800 000001A0
	s_load_dword s97, s[0:1], 0x1b0                            // 000000002E58: C0021840 000001B0
	s_waitcnt lgkmcnt(0)                                       // 000000002E60: BF8CC07F
	s_cmp_eq_u32 s96, 0                                        // 000000002E64: BF068060
	s_cbranch_scc1 label_005C                                  // 000000002E68: BF850041
	v_cvt_f32_u32_e32 v52, s97                                 // 000000002E6C: 7E680C61
	s_sub_i32 s60, 0, s97                                      // 000000002E70: 81BC6180
	v_rcp_iflag_f32_e32 v52, v52                               // 000000002E74: 7E684734
	s_nop 0                                                    // 000000002E78: BF800000
	v_mul_f32_e32 v52, 0x4f7ffffe, v52                         // 000000002E7C: 0A6868FF 4F7FFFFE
	v_cvt_u32_f32_e32 v52, v52                                 // 000000002E84: 7E680F34
	v_mul_lo_u32 v53, s60, v52                                 // 000000002E88: D2850035 0002683C
	v_mul_hi_u32 v53, v52, v53                                 // 000000002E90: D2860035 00026B34
	v_add_u32_e32 v52, v52, v53                                // 000000002E98: 68686B34
	v_mul_hi_u32 v52, s96, v52                                 // 000000002E9C: D2860034 00026860
	v_mul_lo_u32 v53, v52, s97                                 // 000000002EA4: D2850035 0000C334
	v_sub_u32_e32 v55, s96, v53                                // 000000002EAC: 6A6E6A60
	v_add_u32_e32 v54, 1, v52                                  // 000000002EB0: 686C6881
	v_cmp_le_u32_e32 vcc, s97, v55                             // 000000002EB4: 7D966E61
	v_subrev_u32_e32 v53, s97, v55                             // 000000002EB8: 6C6A6E61
	s_nop 0                                                    // 000000002EBC: BF800000
	v_cndmask_b32_e32 v52, v52, v54, vcc                       // 000000002EC0: 00686D34
	v_cndmask_b32_e32 v55, v55, v53, vcc                       // 000000002EC4: 006E6B37
	v_add_u32_e32 v53, 1, v52                                  // 000000002EC8: 686A6881
	v_cmp_le_u32_e32 vcc, s97, v55                             // 000000002ECC: 7D966E61
	s_nop 1                                                    // 000000002ED0: BF800001
	v_cndmask_b32_e32 v55, v52, v53, vcc                       // 000000002ED4: 006E6B34
	s_nop 3                                                    // 000000002ED8: BF800003
	v_readfirstlane_b32 s98, v55                               // 000000002EDC: 7EC40537
	s_nop 3                                                    // 000000002EE0: BF800003

0000000000002ee4 <label_0039>:
	s_mov_b32 s4, 0                                            // 000000002EE4: BE840080
	v_cvt_f32_u32_e32 v52, s97                                 // 000000002EE8: 7E680C61
	s_sub_i32 s60, 0, s97                                      // 000000002EEC: 81BC6180
	v_rcp_iflag_f32_e32 v52, v52                               // 000000002EF0: 7E684734
	s_nop 0                                                    // 000000002EF4: BF800000
	v_mul_f32_e32 v52, 0x4f7ffffe, v52                         // 000000002EF8: 0A6868FF 4F7FFFFE
	v_cvt_u32_f32_e32 v52, v52                                 // 000000002F00: 7E680F34
	v_mul_lo_u32 v53, s60, v52                                 // 000000002F04: D2850035 0002683C
	v_mul_hi_u32 v53, v52, v53                                 // 000000002F0C: D2860035 00026B34
	v_add_u32_e32 v52, v52, v53                                // 000000002F14: 68686B34
	v_mul_hi_u32 v52, s99, v52                                 // 000000002F18: D2860034 00026863
	v_mul_lo_u32 v53, v52, s97                                 // 000000002F20: D2850035 0000C334
	v_sub_u32_e32 v55, s99, v53                                // 000000002F28: 6A6E6A63
	v_add_u32_e32 v54, 1, v52                                  // 000000002F2C: 686C6881
	v_cmp_le_u32_e32 vcc, s97, v55                             // 000000002F30: 7D966E61
	v_subrev_u32_e32 v53, s97, v55                             // 000000002F34: 6C6A6E61
	s_nop 0                                                    // 000000002F38: BF800000
	v_cndmask_b32_e32 v52, v52, v54, vcc                       // 000000002F3C: 00686D34
	v_cndmask_b32_e32 v55, v55, v53, vcc                       // 000000002F40: 006E6B37
	v_add_u32_e32 v53, 1, v52                                  // 000000002F44: 686A6881
	v_cmp_le_u32_e32 vcc, s97, v55                             // 000000002F48: 7D966E61
	s_nop 1                                                    // 000000002F4C: BF800001
	v_cndmask_b32_e32 v55, v52, v53, vcc                       // 000000002F50: 006E6B34
	s_nop 3                                                    // 000000002F54: BF800003
	v_readfirstlane_b32 s3, v55                                // 000000002F58: 7E060537
	s_nop 3                                                    // 000000002F5C: BF800003
	s_mul_i32 s60, s3, s97                                     // 000000002F60: 923C6103
	s_sub_u32 s2, s99, s60                                     // 000000002F64: 80823C63
	s_mul_i32 s60, s98, s100                                   // 000000002F68: 923C6462
	s_add_i32 s3, s3, s60                                      // 000000002F6C: 81033C03

0000000000002f70 <label_005C>:
	s_and_b32 s1, s1, 0xffff                                   // 000000002F70: 8601FF01 0000FFFF
	s_load_dwordx2 s[8:9], s[0:1], 0x0                         // 000000002F78: C0060200 00000000
	s_load_dwordx2 s[20:21], s[0:1], 0x10                      // 000000002F80: C0060500 00000010
	s_load_dwordx2 s[24:25], s[0:1], 0x20                      // 000000002F88: C0060600 00000020
	s_load_dwordx2 s[50:51], s[0:1], 0x30                      // 000000002F90: C0060C80 00000030
	s_load_dwordx2 s[12:13], s[0:1], 0x40                      // 000000002F98: C0060300 00000040
	s_load_dwordx2 s[28:29], s[0:1], 0x50                      // 000000002FA0: C0060700 00000050
	s_load_dwordx2 s[32:33], s[0:1], 0x60                      // 000000002FA8: C0060800 00000060
	s_load_dwordx2 s[16:17], s[0:1], 0x70                      // 000000002FB0: C0060400 00000070
	s_load_dwordx2 s[36:37], s[0:1], 0x80                      // 000000002FB8: C0060900 00000080
	s_load_dwordx2 s[44:45], s[0:1], 0x90                      // 000000002FC0: C0060B00 00000090
	s_load_dwordx2 s[40:41], s[0:1], 0xa0                      // 000000002FC8: C0060A00 000000A0
	s_load_dwordx2 s[46:47], s[0:1], 0xb0                      // 000000002FD0: C0060B80 000000B0
	s_load_dword s64, s[0:1], 0xc0                             // 000000002FD8: C0021000 000000C0
	s_load_dword s65, s[0:1], 0xd0                             // 000000002FE0: C0021040 000000D0
	s_load_dword s67, s[0:1], 0xf0                             // 000000002FE8: C00210C0 000000F0
	s_load_dword s68, s[0:1], 0x100                            // 000000002FF0: C0021100 00000100
	s_load_dword s69, s[0:1], 0x110                            // 000000002FF8: C0021140 00000110
	s_load_dword s70, s[0:1], 0x120                            // 000000003000: C0021180 00000120
	s_load_dword s71, s[0:1], 0x130                            // 000000003008: C00211C0 00000130
	s_load_dword s72, s[0:1], 0x140                            // 000000003010: C0021200 00000140
	s_load_dword s73, s[0:1], 0x150                            // 000000003018: C0021240 00000150
	s_load_dword s74, s[0:1], 0x160                            // 000000003020: C0021280 00000160
	s_load_dword s75, s[0:1], 0x170                            // 000000003028: C00212C0 00000170
	s_load_dword s76, s[0:1], 0x180                            // 000000003030: C0021300 00000180
	s_mov_b32 s2, s2                                           // 000000003038: BE820002
	s_mov_b32 s3, s3                                           // 00000000303C: BE830003
	s_mov_b32 s4, s4                                           // 000000003040: BE840004
	s_waitcnt lgkmcnt(0)                                       // 000000003044: BF8CC07F
	s_and_b32 s51, s51, 0xffff                                 // 000000003048: 8633FF33 0000FFFF
	s_load_dword s66, s[50:51], 0x4                            // 000000003050: C0021099 00000004
	s_load_dword s50, s[50:51], 0x0                            // 000000003058: C0020C99 00000000
	s_waitcnt lgkmcnt(0)                                       // 000000003060: BF8CC07F
	s_and_b32 s45, s45, 0xffff                                 // 000000003064: 862DFF2D 0000FFFF
	s_and_b32 s47, s47, 0xffff                                 // 00000000306C: 862FFF2F 0000FFFF
	s_and_b32 s9, s9, 0xffff                                   // 000000003074: 8609FF09 0000FFFF
	s_mul_i32 s60, s66, s68                                    // 00000000307C: 923C4442
	s_mul_i32 s61, s66, 4                                      // 000000003080: 923D8442
	s_mov_b32 s22, s60                                         // 000000003084: BE96003C
	s_mov_b32 s26, -16                                         // 000000003088: BE9A00D0
	s_mov_b32 s14, -16                                         // 00000000308C: BE8E00D0
	s_mov_b32 s42, -16                                         // 000000003090: BEAA00D0
	s_mov_b32 s30, s61                                         // 000000003094: BE9E003D
	s_mov_b32 s34, 0x800                                       // 000000003098: BEA200FF 00000800
	s_mov_b32 s38, 0x800                                       // 0000000030A0: BEA600FF 00000800
	s_mov_b32 s18, -16                                         // 0000000030A8: BE9200D0
	s_mov_b32 s23, 0x20000                                     // 0000000030AC: BE9700FF 00020000
	s_mov_b32 s27, 0x20000                                     // 0000000030B4: BE9B00FF 00020000
	s_mov_b32 s15, 0x20000                                     // 0000000030BC: BE8F00FF 00020000
	s_mov_b32 s43, 0x20000                                     // 0000000030C4: BEAB00FF 00020000
	s_mov_b32 s31, 0x20000                                     // 0000000030CC: BE9F00FF 00020000
	s_mov_b32 s35, 0x20000                                     // 0000000030D4: BEA300FF 00020000
	s_mov_b32 s39, 0x20000                                     // 0000000030DC: BEA700FF 00020000
	s_mov_b32 s19, 0x20000                                     // 0000000030E4: BE9300FF 00020000
	s_and_b32 s21, s21, 0xffff                                 // 0000000030EC: 8615FF15 0000FFFF
	s_and_b32 s25, s25, 0xffff                                 // 0000000030F4: 8619FF19 0000FFFF
	s_and_b32 s13, s13, 0xffff                                 // 0000000030FC: 860DFF0D 0000FFFF
	s_and_b32 s41, s41, 0xffff                                 // 000000003104: 8629FF29 0000FFFF
	s_and_b32 s29, s29, 0xffff                                 // 00000000310C: 861DFF1D 0000FFFF
	s_and_b32 s33, s33, 0xffff                                 // 000000003114: 8621FF21 0000FFFF
	s_and_b32 s37, s37, 0xffff                                 // 00000000311C: 8625FF25 0000FFFF
	s_and_b32 s17, s17, 0xffff                                 // 000000003124: 8611FF11 0000FFFF
	s_or_b32 s21, s21, 0x40000                                 // 00000000312C: 8715FF15 00040000
	s_or_b32 s25, s25, 0x40000                                 // 000000003134: 8719FF19 00040000
	s_or_b32 s13, s13, 0x40000                                 // 00000000313C: 870DFF0D 00040000
	s_or_b32 s41, s41, 0x40000                                 // 000000003144: 8729FF29 00040000
	s_or_b32 s29, s29, 0x40000                                 // 00000000314C: 871DFF1D 00040000
	s_or_b32 s33, s33, 0x40000                                 // 000000003154: 8721FF21 00040000
	s_or_b32 s37, s37, 0x40000                                 // 00000000315C: 8725FF25 00040000
	s_or_b32 s17, s17, 0x40000                                 // 000000003164: 8711FF11 00040000
	v_accvgpr_write_b32 a255, 0                                // 00000000316C: D3D940FF 18000080
	v_mov_b32_e32 v255, 0                                      // 000000003174: 7FFE0280
	s_waitcnt lgkmcnt(0)                                       // 000000003178: BF8CC07F
	s_mul_i32 s60, s3, 32                                      // 00000000317C: 923CA003
	s_cmp_lt_i32 s60, s50                                      // 000000003180: BF04323C
	s_cbranch_scc0 label_28A9                                  // 000000003184: BF8427C7
	s_mov_b32 s80, 0                                           // 000000003188: BED00080
	s_mov_b32 s81, s64                                         // 00000000318C: BED10040
	s_mul_i32 s60, s3, 4                                       // 000000003190: 923C8403
	s_add_u32 s46, s60, s46                                    // 000000003194: 802E2E3C
	s_addc_u32 s47, 0, s47                                     // 000000003198: 822F2F80
	s_load_dword s5, s[46:47], 0x0                             // 00000000319C: C0020157 00000000
	s_mul_i32 s60, s3, 32                                      // 0000000031A4: 923CA003
	s_mul_i32 s60, 4, s60                                      // 0000000031A8: 923C3C84
	v_and_b32_e32 v52, 15, v0                                  // 0000000031AC: 2668008F
	v_lshlrev_b32_e32 v52, 2, v52                              // 0000000031B0: 24686882
	v_add_u32_e32 v52, s60, v52                                // 0000000031B4: 6868683C
	v_mov_b32_e32 v53, 0                                       // 0000000031B8: 7E6A0280
	global_load_dword v6, v52, s[44:45]                        // 0000000031BC: DC508000 062C0034
	v_add_u32_e32 v52, 64, v52                                 // 0000000031C4: 686868C0
	global_load_dword v7, v52, s[44:45]                        // 0000000031C8: DC508000 072C0034
	s_mul_i32 s60, s3, 32                                      // 0000000031D0: 923CA003
	s_add_u32 s60, s7, s60                                     // 0000000031D4: 803C3C07
	s_mul_i32 s60, 4, s60                                      // 0000000031D8: 923C3C84
	s_add_u32 s44, s60, s44                                    // 0000000031DC: 802C2C3C
	s_addc_u32 s45, 0, s45                                     // 0000000031E0: 822D2D80
	s_load_dword s82, s[44:45], 0x0                            // 0000000031E4: C0021496 00000000
	s_load_dword s83, s[44:45], 0x10                           // 0000000031EC: C00214D6 00000010
	s_load_dword s84, s[44:45], 0x20                           // 0000000031F4: C0021516 00000020
	s_load_dword s85, s[44:45], 0x30                           // 0000000031FC: C0021556 00000030
	s_load_dword s86, s[44:45], 0x40                           // 000000003204: C0021596 00000040
	s_load_dword s87, s[44:45], 0x50                           // 00000000320C: C00215D6 00000050
	s_load_dword s88, s[44:45], 0x60                           // 000000003214: C0021616 00000060
	s_load_dword s89, s[44:45], 0x70                           // 00000000321C: C0021656 00000070
	s_waitcnt lgkmcnt(0)                                       // 000000003224: BF8CC07F
	v_lshlrev_b32_e32 v52, 2, v0                               // 000000003228: 24680082
	s_and_b32 s82, s82, 0xffffff                               // 00000000322C: 8652FF52 00FFFFFF
	s_mul_i32 s60, s82, s68                                    // 000000003234: 923C4452
	v_add_u32_e64 v26, v52, s60                                // 000000003238: D134001A 00007934
	s_and_b32 s83, s83, 0xffffff                               // 000000003240: 8653FF53 00FFFFFF
	s_mul_i32 s60, s83, s68                                    // 000000003248: 923C4453
	v_add_u32_e64 v27, v52, s60                                // 00000000324C: D134001B 00007934
	s_and_b32 s84, s84, 0xffffff                               // 000000003254: 8654FF54 00FFFFFF
	s_mul_i32 s60, s84, s68                                    // 00000000325C: 923C4454
	v_add_u32_e64 v28, v52, s60                                // 000000003260: D134001C 00007934
	s_and_b32 s85, s85, 0xffffff                               // 000000003268: 8655FF55 00FFFFFF
	s_mul_i32 s60, s85, s68                                    // 000000003270: 923C4455
	v_add_u32_e64 v29, v52, s60                                // 000000003274: D134001D 00007934
	s_and_b32 s86, s86, 0xffffff                               // 00000000327C: 8656FF56 00FFFFFF
	s_mul_i32 s60, s86, s68                                    // 000000003284: 923C4456
	v_add_u32_e64 v30, v52, s60                                // 000000003288: D134001E 00007934
	s_and_b32 s87, s87, 0xffffff                               // 000000003290: 8657FF57 00FFFFFF
	s_mul_i32 s60, s87, s68                                    // 000000003298: 923C4457
	v_add_u32_e64 v31, v52, s60                                // 00000000329C: D134001F 00007934
	s_and_b32 s88, s88, 0xffffff                               // 0000000032A4: 8658FF58 00FFFFFF
	s_mul_i32 s60, s88, s68                                    // 0000000032AC: 923C4458
	v_add_u32_e64 v32, v52, s60                                // 0000000032B0: D1340020 00007934
	s_and_b32 s89, s89, 0xffffff                               // 0000000032B8: 8659FF59 00FFFFFF
	s_mul_i32 s60, s89, s68                                    // 0000000032C0: 923C4459
	v_add_u32_e64 v33, v52, s60                                // 0000000032C4: D1340021 00007934
	v_lshlrev_b32_e32 v52, 2, v0                               // 0000000032CC: 24680082
	s_mul_i32 s60, s82, s71                                    // 0000000032D0: 923C4752
	v_add_u32_e64 v80, v52, s60                                // 0000000032D4: D1340050 00007934
	v_mov_b32_e32 v81, 0                                       // 0000000032DC: 7EA20280
	s_mul_i32 s60, s83, s71                                    // 0000000032E0: 923C4753
	v_add_u32_e64 v82, v52, s60                                // 0000000032E4: D1340052 00007934
	v_mov_b32_e32 v83, 0                                       // 0000000032EC: 7EA60280
	s_mul_i32 s60, s84, s71                                    // 0000000032F0: 923C4754
	v_add_u32_e64 v84, v52, s60                                // 0000000032F4: D1340054 00007934
	v_mov_b32_e32 v85, 0                                       // 0000000032FC: 7EAA0280
	s_mul_i32 s60, s85, s71                                    // 000000003300: 923C4755
	v_add_u32_e64 v86, v52, s60                                // 000000003304: D1340056 00007934
	v_mov_b32_e32 v87, 0                                       // 00000000330C: 7EAE0280
	s_mul_i32 s60, s86, s71                                    // 000000003310: 923C4756
	v_add_u32_e64 v88, v52, s60                                // 000000003314: D1340058 00007934
	v_mov_b32_e32 v89, 0                                       // 00000000331C: 7EB20280
	s_mul_i32 s60, s87, s71                                    // 000000003320: 923C4757
	v_add_u32_e64 v90, v52, s60                                // 000000003324: D134005A 00007934
	v_mov_b32_e32 v91, 0                                       // 00000000332C: 7EB60280
	s_mul_i32 s60, s88, s71                                    // 000000003330: 923C4758
	v_add_u32_e64 v92, v52, s60                                // 000000003334: D134005C 00007934
	v_mov_b32_e32 v93, 0                                       // 00000000333C: 7EBA0280
	s_mul_i32 s60, s89, s71                                    // 000000003340: 923C4759
	v_add_u32_e64 v94, v52, s60                                // 000000003344: D134005E 00007934
	v_mov_b32_e32 v95, 0                                       // 00000000334C: 7EBE0280
	s_mul_i32 s60, s7, 0x820                                   // 000000003350: 923CFF07 00000820
	s_add_u32 s50, 0, s60                                      // 000000003358: 80323C80
	s_add_u32 s51, 0x2080, s50                                 // 00000000335C: 803332FF 00002080
	v_lshrrev_b32_e32 v52, 4, v0                               // 000000003364: 20680084
	v_lshlrev_b32_e32 v53, 2, v52                              // 000000003368: 246A6882
	v_and_b32_e32 v52, 15, v0                                  // 00000000336C: 2668008F
	v_lshrrev_b32_e32 v54, 2, v52                              // 000000003370: 206C6882
	v_lshlrev_b32_e32 v54, 6, v54                              // 000000003374: 246C6C86
	v_add_u32_e32 v53, v54, v53                                // 000000003378: 686A6B36
	v_and_b32_e32 v52, 3, v0                                   // 00000000337C: 26680083
	v_mul_i32_i24_e32 v54, 0x208, v52                          // 000000003380: 0C6C68FF 00000208
	v_add_u32_e32 v53, v54, v53                                // 000000003388: 686A6B36
	v_lshlrev_b32_e32 v2, 2, v53                               // 00000000338C: 24046A82
	s_mul_i32 s60, s2, 0x200                                   // 000000003390: 923CFF02 00000200
	s_mul_i32 s60, s60, s69                                    // 000000003398: 923C453C
	s_mul_i32 s61, s5, s72                                     // 00000000339C: 923D4805
	s_add_u32 s60, s61, s60                                    // 0000000033A0: 803C3C3D
	s_add_u32 s24, s60, s24                                    // 0000000033A4: 8018183C
	s_addc_u32 s25, 0, s25                                     // 0000000033A8: 82191980
	s_mul_i32 s60, s7, 16                                      // 0000000033AC: 923C9007
	s_mul_i32 s60, s60, s69                                    // 0000000033B0: 923C453C
	v_lshlrev_b32_e32 v34, 4, v0                               // 0000000033B4: 24440084
	v_add_u32_e32 v34, s60, v34                                // 0000000033B8: 6844443C
	s_mul_i32 s60, 64, s69                                     // 0000000033BC: 923C45C0
	v_add_u32_e32 v35, s60, v34                                // 0000000033C0: 6846443C
	v_add_u32_e32 v36, s60, v35                                // 0000000033C4: 6848463C
	v_add_u32_e32 v37, s60, v36                                // 0000000033C8: 684A483C
	v_add_u32_e32 v38, s60, v37                                // 0000000033CC: 684C4A3C
	v_add_u32_e32 v39, s60, v38                                // 0000000033D0: 684E4C3C
	v_add_u32_e32 v40, s60, v39                                // 0000000033D4: 68504E3C
	v_add_u32_e32 v41, s60, v40                                // 0000000033D8: 6852503C
	s_mov_b32 s92, s24                                         // 0000000033DC: BEDC0018
	s_mov_b32 s93, s25                                         // 0000000033E0: BEDD0019
	s_mov_b32 s94, s26                                         // 0000000033E4: BEDE001A
	s_mov_b32 s95, s27                                         // 0000000033E8: BEDF001B
	s_mul_i32 s60, s69, s65                                    // 0000000033EC: 923C4145
	s_add_u32 s92, s60, s92                                    // 0000000033F0: 805C5C3C
	s_addc_u32 s93, 0, s93                                     // 0000000033F4: 825D5D80
	s_mul_i32 s60, s2, 0x2000                                  // 0000000033F8: 923CFF02 00002000
	s_mul_i32 s61, s5, s73                                     // 000000003400: 923D4905
	s_add_u32 s60, s61, s60                                    // 000000003404: 803C3C3D
	s_add_u32 s12, s60, s12                                    // 000000003408: 800C0C3C
	s_addc_u32 s13, 0, s13                                     // 00000000340C: 820D0D80
	s_mul_i32 s60, s7, 16                                      // 000000003410: 923C9007
	s_mul_i32 s60, s60, s70                                    // 000000003414: 923C463C
	v_lshlrev_b32_e32 v42, 4, v0                               // 000000003418: 24540084
	v_add_u32_e32 v42, s60, v42                                // 00000000341C: 6854543C
	s_mul_i32 s60, 64, s70                                     // 000000003420: 923C46C0
	v_add_u32_e32 v43, s60, v42                                // 000000003424: 6856543C
	v_add_u32_e32 v44, s60, v43                                // 000000003428: 6858563C
	v_add_u32_e32 v45, s60, v44                                // 00000000342C: 685A583C
	s_mul_i32 s60, s70, 0x100                                  // 000000003430: 923CFF46 00000100
	s_mov_b32 s78, 0x400                                       // 000000003438: BECE00FF 00000400
	s_mul_i32 s61, s78, 7                                      // 000000003440: 923D874E
	s_sub_u32 s56, s60, s61                                    // 000000003444: 80B83D3C
	s_mul_i32 s60, s3, 32                                      // 000000003448: 923CA003
	s_mul_i32 s60, 4, s60                                      // 00000000344C: 923C3C84
	s_add_u32 s40, s60, s40                                    // 000000003450: 8028283C
	s_addc_u32 s41, 0, s41                                     // 000000003454: 82292980
	v_and_b32_e32 v52, 15, v0                                  // 000000003458: 2668008F
	v_lshlrev_b32_e32 v8, 2, v52                               // 00000000345C: 24106882
	v_add_u32_e32 v9, 64, v8                                   // 000000003460: 681210C0
	v_lshrrev_b32_e32 v52, 4, v0                               // 000000003464: 20680084
	v_lshlrev_b32_e32 v53, 2, v52                              // 000000003468: 246A6882
	v_and_b32_e32 v52, 15, v0                                  // 00000000346C: 2668008F
	v_lshrrev_b32_e32 v54, 2, v52                              // 000000003470: 206C6882
	v_lshlrev_b32_e32 v54, 6, v54                              // 000000003474: 246C6C86
	v_add_u32_e32 v53, v54, v53                                // 000000003478: 686A6B36
	v_and_b32_e32 v52, 3, v0                                   // 00000000347C: 26680083
	v_add_u32_e32 v53, v52, v53                                // 000000003480: 686A6B34
	v_lshlrev_b32_e32 v10, 2, v53                              // 000000003484: 24146A82
	v_add_u32_e32 v11, 0x400, v10                              // 000000003488: 681614FF 00000400
	s_mul_i32 s60, s7, 16                                      // 000000003490: 923C9007
	s_mul_i32 s60, s60, 4                                      // 000000003494: 923C843C
	v_add_u32_e32 v10, s60, v10                                // 000000003498: 6814143C
	v_add_u32_e32 v11, s60, v11                                // 00000000349C: 6816163C
	v_mov_b32_e32 v5, v10                                      // 0000000034A0: 7E0A030A
	s_mul_i32 s60, s2, 0x200                                   // 0000000034A4: 923CFF02 00000200
	s_mul_i32 s60, s60, 4                                      // 0000000034AC: 923C843C
	s_mul_i32 s61, s5, s74                                     // 0000000034B0: 923D4A05
	s_add_u32 s61, s61, s60                                    // 0000000034B4: 803D3C3D
	s_mul_i32 s62, s5, s76                                     // 0000000034B8: 923E4C05
	s_add_u32 s62, s62, s60                                    // 0000000034BC: 803E3C3E
	s_add_u32 s32, s61, s32                                    // 0000000034C0: 8020203D
	s_addc_u32 s33, 0, s33                                     // 0000000034C4: 82212180
	s_add_u32 s36, s62, s36                                    // 0000000034C8: 8024243E
	s_addc_u32 s37, 0, s37                                     // 0000000034CC: 82252580
	s_mul_i32 s60, s5, s75                                     // 0000000034D0: 923C4B05
	s_add_u32 s16, s60, s16                                    // 0000000034D4: 8010103C
	s_addc_u32 s17, 0, s17                                     // 0000000034D8: 82111180
	s_mov_b32 s57, 0x100                                       // 0000000034DC: BEB900FF 00000100
	s_mov_b32 s58, 0x1000                                      // 0000000034E4: BEBA00FF 00001000
	s_mov_b32 s79, 0x400                                       // 0000000034EC: BECF00FF 00000400
	s_mov_b32 s59, 0x200                                       // 0000000034F4: BEBB00FF 00000200
	s_mov_b32 s90, s58                                         // 0000000034FC: BEDA003A
	s_mov_b32 s52, 0x7060302                                   // 000000003500: BEB400FF 07060302
	s_mov_b32 s53, 0x400                                       // 000000003508: BEB500FF 00000400
	s_mov_b32 s54, 0x40100                                     // 000000003510: BEB600FF 00040100
	s_mov_b32 s55, 0x4020100                                   // 000000003518: BEB700FF 04020100
	s_mov_b32 s6, 0x3fb8aa3b                                   // 000000003520: BE8600FF 3FB8AA3B
	s_mov_b32 s77, 0xbd92220c                                  // 000000003528: BECD00FF BD92220C
	s_mov_b32 m0, s50                                          // 000000003530: BEFC0032
	v_mov_b32_e32 v1, 0xbfcc4231                               // 000000003534: 7E0202FF BFCC4231
	v_mov_b32_e32 v47, 0xffff0000                              // 00000000353C: 7E5E02FF FFFF0000
	v_mov_b32_e32 v48, 0x7fff0000                              // 000000003544: 7E6002FF 7FFF0000
	v_mov_b32_e32 v49, 0x7fff                                  // 00000000354C: 7E6202FF 00007FFF
	s_waitcnt vmcnt(0) expcnt(0) lgkmcnt(0)                    // 000000003554: BF8C0000
	v_and_b32_e32 v6, 0xffffff, v6                             // 000000003558: 260C0CFF 00FFFFFF
	v_and_b32_e32 v7, 0xffffff, v7                             // 000000003560: 260E0EFF 00FFFFFF
	v_lshlrev_b32_e32 v6, 2, v6                                // 000000003568: 240C0C82
	v_lshlrev_b32_e32 v7, 2, v7                                // 00000000356C: 240E0E82
	buffer_load_dword v14, v6, s[28:31], 0 offen               // 000000003570: E0501000 80070E06
	buffer_load_dword v15, v7, s[28:31], 0 offen               // 000000003578: E0501000 80070F07
	buffer_load_dword v16, v10, s[32:35], 0 offen              // 000000003580: E0501000 8008100A
	buffer_load_dword v17, v11, s[32:35], 0 offen              // 000000003588: E0501000 8008110B
	s_mul_i32 s60, 4, s65                                      // 000000003590: 923C4184
	s_add_u32 s32, s60, s32                                    // 000000003594: 8020203C
	s_addc_u32 s33, 0, s33                                     // 000000003598: 82212180
	buffer_load_dword v50, v10, s[32:35], 0 offen              // 00000000359C: E0501000 8008320A
	buffer_load_dword v51, v11, s[32:35], 0 offen              // 0000000035A4: E0501000 8008330B
	buffer_load_dword v20, v8, s[40:43], 0 offen               // 0000000035AC: E0501000 800A1408
	buffer_load_dword v21, v9, s[40:43], 0 offen               // 0000000035B4: E0501000 800A1509
	buffer_load_dword v26, s[20:23], 0 offen lds               // 0000000035BC: E0511000 8005001A
	s_add_u32 m0, 0x100, s50                                   // 0000000035C4: 807C32FF 00000100
	buffer_load_dword v27, s[20:23], 0 offen lds               // 0000000035CC: E0511000 8005001B
	s_add_u32 m0, 0x200, s50                                   // 0000000035D4: 807C32FF 00000200
	buffer_load_dword v28, s[20:23], 0 offen lds               // 0000000035DC: E0511000 8005001C
	s_add_u32 m0, 0x300, s50                                   // 0000000035E4: 807C32FF 00000300
	buffer_load_dword v29, s[20:23], 0 offen lds               // 0000000035EC: E0511000 8005001D
	s_add_u32 m0, 0x400, s50                                   // 0000000035F4: 807C32FF 00000400
	buffer_load_dword v30, s[20:23], 0 offen lds               // 0000000035FC: E0511000 8005001E
	s_add_u32 m0, 0x500, s50                                   // 000000003604: 807C32FF 00000500
	buffer_load_dword v31, s[20:23], 0 offen lds               // 00000000360C: E0511000 8005001F
	s_add_u32 m0, 0x600, s50                                   // 000000003614: 807C32FF 00000600
	buffer_load_dword v32, s[20:23], 0 offen lds               // 00000000361C: E0511000 80050020
	s_add_u32 m0, 0x700, s50                                   // 000000003624: 807C32FF 00000700
	buffer_load_dword v33, s[20:23], 0 offen lds               // 00000000362C: E0511000 80050021
	s_add_u32 m0, 0, s51                                       // 000000003634: 807C3380
	s_add_u32 s20, s57, s20                                    // 000000003638: 80141439
	s_addc_u32 s21, 0, s21                                     // 00000000363C: 82151580
	buffer_load_dwordx4 a[0:3], v34, s[24:27], 0 offen         // 000000003640: E05C1000 80860022
	buffer_load_dwordx4 a[4:7], v34, s[24:27], 0 offen offset:1024// 000000003648: E05C1400 80860422
	buffer_load_dwordx4 a[8:11], v34, s[24:27], 0 offen offset:2048// 000000003650: E05C1800 80860822
	buffer_load_dwordx4 a[12:15], v34, s[24:27], 0 offen offset:3072// 000000003658: E05C1C00 80860C22
	buffer_load_dwordx4 a[16:19], v35, s[24:27], 0 offen       // 000000003660: E05C1000 80861023
	buffer_load_dwordx4 a[20:23], v35, s[24:27], 0 offen offset:1024// 000000003668: E05C1400 80861423
	buffer_load_dwordx4 a[24:27], v35, s[24:27], 0 offen offset:2048// 000000003670: E05C1800 80861823
	buffer_load_dwordx4 a[28:31], v35, s[24:27], 0 offen offset:3072// 000000003678: E05C1C00 80861C23
	buffer_load_dwordx4 a[32:35], v36, s[24:27], 0 offen       // 000000003680: E05C1000 80862024
	buffer_load_dwordx4 a[36:39], v36, s[24:27], 0 offen offset:1024// 000000003688: E05C1400 80862424
	buffer_load_dwordx4 a[40:43], v36, s[24:27], 0 offen offset:2048// 000000003690: E05C1800 80862824
	buffer_load_dwordx4 a[44:47], v36, s[24:27], 0 offen offset:3072// 000000003698: E05C1C00 80862C24
	buffer_load_dwordx4 a[48:51], v37, s[24:27], 0 offen       // 0000000036A0: E05C1000 80863025
	buffer_load_dwordx4 a[52:55], v37, s[24:27], 0 offen offset:1024// 0000000036A8: E05C1400 80863425
	buffer_load_dwordx4 a[56:59], v37, s[24:27], 0 offen offset:2048// 0000000036B0: E05C1800 80863825
	buffer_load_dwordx4 a[60:63], v37, s[24:27], 0 offen offset:3072// 0000000036B8: E05C1C00 80863C25
	buffer_load_dwordx4 a[64:67], v38, s[24:27], 0 offen       // 0000000036C0: E05C1000 80864026
	buffer_load_dwordx4 a[68:71], v38, s[24:27], 0 offen offset:1024// 0000000036C8: E05C1400 80864426
	buffer_load_dwordx4 a[72:75], v38, s[24:27], 0 offen offset:2048// 0000000036D0: E05C1800 80864826
	buffer_load_dwordx4 a[76:79], v38, s[24:27], 0 offen offset:3072// 0000000036D8: E05C1C00 80864C26
	buffer_load_dwordx4 a[80:83], v39, s[24:27], 0 offen       // 0000000036E0: E05C1000 80865027
	buffer_load_dwordx4 a[84:87], v39, s[24:27], 0 offen offset:1024// 0000000036E8: E05C1400 80865427
	buffer_load_dwordx4 a[88:91], v39, s[24:27], 0 offen offset:2048// 0000000036F0: E05C1800 80865827
	buffer_load_dwordx4 a[92:95], v39, s[24:27], 0 offen offset:3072// 0000000036F8: E05C1C00 80865C27
	buffer_load_dwordx4 a[96:99], v40, s[24:27], 0 offen       // 000000003700: E05C1000 80866028
	buffer_load_dwordx4 a[100:103], v40, s[24:27], 0 offen offset:1024// 000000003708: E05C1400 80866428
	buffer_load_dwordx4 a[104:107], v40, s[24:27], 0 offen offset:2048// 000000003710: E05C1800 80866828
	buffer_load_dwordx4 a[108:111], v40, s[24:27], 0 offen offset:3072// 000000003718: E05C1C00 80866C28
	buffer_load_dwordx4 a[112:115], v41, s[24:27], 0 offen     // 000000003720: E05C1000 80867029
	buffer_load_dwordx4 a[116:119], v41, s[24:27], 0 offen offset:1024// 000000003728: E05C1400 80867429
	buffer_load_dwordx4 a[120:123], v41, s[24:27], 0 offen offset:2048// 000000003730: E05C1800 80867829
	buffer_load_dwordx4 a[124:127], v41, s[24:27], 0 offen offset:3072// 000000003738: E05C1C00 80867C29
	s_add_u32 s24, s58, s24                                    // 000000003740: 8018183A
	s_addc_u32 s25, 0, s25                                     // 000000003744: 82191980
	v_mov_b32_e32 v128, 0                                      // 000000003748: 7F000280
	v_mov_b32_e32 v64, 0                                       // 00000000374C: 7E800280
	v_mov_b32_e32 v129, 0                                      // 000000003750: 7F020280
	v_mov_b32_e32 v65, 0                                       // 000000003754: 7E820280
	v_mov_b32_e32 v130, 0                                      // 000000003758: 7F040280
	v_mov_b32_e32 v66, 0                                       // 00000000375C: 7E840280
	v_mov_b32_e32 v131, 0                                      // 000000003760: 7F060280
	v_mov_b32_e32 v67, 0                                       // 000000003764: 7E860280
	v_mov_b32_e32 v132, 0                                      // 000000003768: 7F080280
	v_mov_b32_e32 v68, 0                                       // 00000000376C: 7E880280
	v_mov_b32_e32 v133, 0                                      // 000000003770: 7F0A0280
	v_mov_b32_e32 v69, 0                                       // 000000003774: 7E8A0280
	v_mov_b32_e32 v134, 0                                      // 000000003778: 7F0C0280
	v_mov_b32_e32 v70, 0                                       // 00000000377C: 7E8C0280
	v_mov_b32_e32 v135, 0                                      // 000000003780: 7F0E0280
	v_mov_b32_e32 v71, 0                                       // 000000003784: 7E8E0280
	v_mov_b32_e32 v136, 0                                      // 000000003788: 7F100280
	v_mov_b32_e32 v72, 0                                       // 00000000378C: 7E900280
	v_mov_b32_e32 v137, 0                                      // 000000003790: 7F120280
	v_mov_b32_e32 v73, 0                                       // 000000003794: 7E920280
	v_mov_b32_e32 v138, 0                                      // 000000003798: 7F140280
	v_mov_b32_e32 v74, 0                                       // 00000000379C: 7E940280
	v_mov_b32_e32 v139, 0                                      // 0000000037A0: 7F160280
	v_mov_b32_e32 v75, 0                                       // 0000000037A4: 7E960280
	v_mov_b32_e32 v140, 0                                      // 0000000037A8: 7F180280
	v_mov_b32_e32 v76, 0                                       // 0000000037AC: 7E980280
	v_mov_b32_e32 v141, 0                                      // 0000000037B0: 7F1A0280
	v_mov_b32_e32 v77, 0                                       // 0000000037B4: 7E9A0280
	v_mov_b32_e32 v142, 0                                      // 0000000037B8: 7F1C0280
	v_mov_b32_e32 v78, 0                                       // 0000000037BC: 7E9C0280
	v_mov_b32_e32 v143, 0                                      // 0000000037C0: 7F1E0280
	v_mov_b32_e32 v79, 0                                       // 0000000037C4: 7E9E0280
	v_mov_b32_e32 v144, 0                                      // 0000000037C8: 7F200280
	v_mov_b32_e32 v80, 0                                       // 0000000037CC: 7EA00280
	v_mov_b32_e32 v145, 0                                      // 0000000037D0: 7F220280
	v_mov_b32_e32 v81, 0                                       // 0000000037D4: 7EA20280
	v_mov_b32_e32 v146, 0                                      // 0000000037D8: 7F240280
	v_mov_b32_e32 v82, 0                                       // 0000000037DC: 7EA40280
	v_mov_b32_e32 v147, 0                                      // 0000000037E0: 7F260280
	v_mov_b32_e32 v83, 0                                       // 0000000037E4: 7EA60280
	v_mov_b32_e32 v148, 0                                      // 0000000037E8: 7F280280
	v_mov_b32_e32 v84, 0                                       // 0000000037EC: 7EA80280
	v_mov_b32_e32 v149, 0                                      // 0000000037F0: 7F2A0280
	v_mov_b32_e32 v85, 0                                       // 0000000037F4: 7EAA0280
	v_mov_b32_e32 v150, 0                                      // 0000000037F8: 7F2C0280
	v_mov_b32_e32 v86, 0                                       // 0000000037FC: 7EAC0280
	v_mov_b32_e32 v151, 0                                      // 000000003800: 7F2E0280
	v_mov_b32_e32 v87, 0                                       // 000000003804: 7EAE0280
	v_mov_b32_e32 v152, 0                                      // 000000003808: 7F300280
	v_mov_b32_e32 v88, 0                                       // 00000000380C: 7EB00280
	v_mov_b32_e32 v153, 0                                      // 000000003810: 7F320280
	v_mov_b32_e32 v89, 0                                       // 000000003814: 7EB20280
	v_mov_b32_e32 v154, 0                                      // 000000003818: 7F340280
	v_mov_b32_e32 v90, 0                                       // 00000000381C: 7EB40280
	v_mov_b32_e32 v155, 0                                      // 000000003820: 7F360280
	v_mov_b32_e32 v91, 0                                       // 000000003824: 7EB60280
	v_mov_b32_e32 v156, 0                                      // 000000003828: 7F380280
	v_mov_b32_e32 v92, 0                                       // 00000000382C: 7EB80280
	v_mov_b32_e32 v157, 0                                      // 000000003830: 7F3A0280
	v_mov_b32_e32 v93, 0                                       // 000000003834: 7EBA0280
	v_mov_b32_e32 v158, 0                                      // 000000003838: 7F3C0280
	v_mov_b32_e32 v94, 0                                       // 00000000383C: 7EBC0280
	v_mov_b32_e32 v159, 0                                      // 000000003840: 7F3E0280
	v_mov_b32_e32 v95, 0                                       // 000000003844: 7EBE0280
	v_mov_b32_e32 v160, 0                                      // 000000003848: 7F400280
	v_mov_b32_e32 v96, 0                                       // 00000000384C: 7EC00280
	v_mov_b32_e32 v161, 0                                      // 000000003850: 7F420280
	v_mov_b32_e32 v97, 0                                       // 000000003854: 7EC20280
	v_mov_b32_e32 v162, 0                                      // 000000003858: 7F440280
	v_mov_b32_e32 v98, 0                                       // 00000000385C: 7EC40280
	v_mov_b32_e32 v163, 0                                      // 000000003860: 7F460280
	v_mov_b32_e32 v99, 0                                       // 000000003864: 7EC60280
	v_mov_b32_e32 v164, 0                                      // 000000003868: 7F480280
	v_mov_b32_e32 v100, 0                                      // 00000000386C: 7EC80280
	v_mov_b32_e32 v165, 0                                      // 000000003870: 7F4A0280
	v_mov_b32_e32 v101, 0                                      // 000000003874: 7ECA0280
	v_mov_b32_e32 v166, 0                                      // 000000003878: 7F4C0280
	v_mov_b32_e32 v102, 0                                      // 00000000387C: 7ECC0280
	v_mov_b32_e32 v167, 0                                      // 000000003880: 7F4E0280
	v_mov_b32_e32 v103, 0                                      // 000000003884: 7ECE0280
	v_mov_b32_e32 v168, 0                                      // 000000003888: 7F500280
	v_mov_b32_e32 v104, 0                                      // 00000000388C: 7ED00280
	v_mov_b32_e32 v169, 0                                      // 000000003890: 7F520280
	v_mov_b32_e32 v105, 0                                      // 000000003894: 7ED20280
	v_mov_b32_e32 v170, 0                                      // 000000003898: 7F540280
	v_mov_b32_e32 v106, 0                                      // 00000000389C: 7ED40280
	v_mov_b32_e32 v171, 0                                      // 0000000038A0: 7F560280
	v_mov_b32_e32 v107, 0                                      // 0000000038A4: 7ED60280
	v_mov_b32_e32 v172, 0                                      // 0000000038A8: 7F580280
	v_mov_b32_e32 v108, 0                                      // 0000000038AC: 7ED80280
	v_mov_b32_e32 v173, 0                                      // 0000000038B0: 7F5A0280
	v_mov_b32_e32 v109, 0                                      // 0000000038B4: 7EDA0280
	v_mov_b32_e32 v174, 0                                      // 0000000038B8: 7F5C0280
	v_mov_b32_e32 v110, 0                                      // 0000000038BC: 7EDC0280
	v_mov_b32_e32 v175, 0                                      // 0000000038C0: 7F5E0280
	v_mov_b32_e32 v111, 0                                      // 0000000038C4: 7EDE0280
	v_mov_b32_e32 v176, 0                                      // 0000000038C8: 7F600280
	v_mov_b32_e32 v112, 0                                      // 0000000038CC: 7EE00280
	v_mov_b32_e32 v177, 0                                      // 0000000038D0: 7F620280
	v_mov_b32_e32 v113, 0                                      // 0000000038D4: 7EE20280
	v_mov_b32_e32 v178, 0                                      // 0000000038D8: 7F640280
	v_mov_b32_e32 v114, 0                                      // 0000000038DC: 7EE40280
	v_mov_b32_e32 v179, 0                                      // 0000000038E0: 7F660280
	v_mov_b32_e32 v115, 0                                      // 0000000038E4: 7EE60280
	v_mov_b32_e32 v180, 0                                      // 0000000038E8: 7F680280
	v_mov_b32_e32 v116, 0                                      // 0000000038EC: 7EE80280
	v_mov_b32_e32 v181, 0                                      // 0000000038F0: 7F6A0280
	v_mov_b32_e32 v117, 0                                      // 0000000038F4: 7EEA0280
	v_mov_b32_e32 v182, 0                                      // 0000000038F8: 7F6C0280
	v_mov_b32_e32 v118, 0                                      // 0000000038FC: 7EEC0280
	v_mov_b32_e32 v183, 0                                      // 000000003900: 7F6E0280
	v_mov_b32_e32 v119, 0                                      // 000000003904: 7EEE0280
	v_mov_b32_e32 v184, 0                                      // 000000003908: 7F700280
	v_mov_b32_e32 v120, 0                                      // 00000000390C: 7EF00280
	v_mov_b32_e32 v185, 0                                      // 000000003910: 7F720280
	v_mov_b32_e32 v121, 0                                      // 000000003914: 7EF20280
	v_mov_b32_e32 v186, 0                                      // 000000003918: 7F740280
	v_mov_b32_e32 v122, 0                                      // 00000000391C: 7EF40280
	v_mov_b32_e32 v187, 0                                      // 000000003920: 7F760280
	v_mov_b32_e32 v123, 0                                      // 000000003924: 7EF60280
	v_mov_b32_e32 v188, 0                                      // 000000003928: 7F780280
	v_mov_b32_e32 v124, 0                                      // 00000000392C: 7EF80280
	v_mov_b32_e32 v189, 0                                      // 000000003930: 7F7A0280
	v_mov_b32_e32 v125, 0                                      // 000000003934: 7EFA0280
	v_mov_b32_e32 v190, 0                                      // 000000003938: 7F7C0280
	v_mov_b32_e32 v126, 0                                      // 00000000393C: 7EFC0280
	v_mov_b32_e32 v191, 0                                      // 000000003940: 7F7E0280
	v_mov_b32_e32 v127, 0                                      // 000000003944: 7EFE0280
	v_lshrrev_b32_e32 v52, 4, v0                               // 000000003948: 20680084
	v_mul_i32_i24_e32 v3, 34, v52                              // 00000000394C: 0C0668A2
	v_and_b32_e32 v52, 15, v0                                  // 000000003950: 2668008F
	v_mul_i32_i24_e32 v53, 2, v52                              // 000000003954: 0C6A6882
	v_add_u32_e32 v3, v53, v3                                  // 000000003958: 68060735
	s_mul_i32 s60, s7, 0x88                                    // 00000000395C: 923CFF07 00000088
	v_add_u32_e32 v3, s60, v3                                  // 000000003964: 6806063C
	v_lshlrev_b32_e32 v3, 2, v3                                // 000000003968: 24060682
	v_lshrrev_b32_e32 v52, 1, v0                               // 00000000396C: 20680081
	v_mul_i32_i24_e32 v4, 34, v52                              // 000000003970: 0C0868A2
	v_and_b32_e32 v53, 1, v0                                   // 000000003974: 266A0081
	v_add_u32_e32 v4, v53, v4                                  // 000000003978: 68080935
	s_mul_i32 s60, s7, 2                                       // 00000000397C: 923C8207
	v_add_u32_e32 v4, s60, v4                                  // 000000003980: 6808083C
	v_lshlrev_b32_e32 v4, 2, v4                                // 000000003984: 24080882
	s_waitcnt vmcnt(32)                                        // 000000003988: BF8C8F70
	s_barrier                                                  // 00000000398C: BF8A0000
	ds_read_b128 v[192:195], v2                                // 000000003990: D9FE0000 C0000002
	ds_read_b128 v[196:199], v2 offset:64                      // 000000003998: D9FE0040 C4000002
	ds_read_b128 v[200:203], v2 offset:128                     // 0000000039A0: D9FE0080 C8000002
	ds_read_b128 v[204:207], v2 offset:192                     // 0000000039A8: D9FE00C0 CC000002
	ds_read_b128 v[208:211], v2 offset:1024                    // 0000000039B0: D9FE0400 D0000002
	ds_read_b128 v[212:215], v2 offset:1088                    // 0000000039B8: D9FE0440 D4000002
	ds_read_b128 v[216:219], v2 offset:1152                    // 0000000039C0: D9FE0480 D8000002
	ds_read_b128 v[220:223], v2 offset:1216                    // 0000000039C8: D9FE04C0 DC000002
	s_cmp_lt_i32 s7, 2                                         // 0000000039D0: BF048207
	s_cbranch_scc0 label_15CF                                  // 0000000039D4: BF8412D9

00000000000039d8 <label_02F6>:
	s_waitcnt vmcnt(24) lgkmcnt(0)                             // 0000000039D8: BF8C4078
	s_barrier                                                  // 0000000039DC: BF8A0000
	v_mfma_i32_16x16x32_i8 v[128:131], a[0:1], v[192:193], v[128:131]// 0000000039E0: D3D70080 0E038100
	v_mfma_i32_16x16x32_i8 v[128:131], a[2:3], v[194:195], v[128:131]// 0000000039E8: D3D70080 0E038502
	buffer_load_dwordx4 a[128:131], v34, s[92:95], 0 offen     // 0000000039F0: E05C1000 80978022
	v_mfma_i32_16x16x32_i8 v[128:131], a[4:5], v[196:197], v[128:131]// 0000000039F8: D3D70080 0E038904
	v_mfma_i32_16x16x32_i8 v[128:131], a[6:7], v[198:199], v[128:131]// 000000003A00: D3D70080 0E038D06
	buffer_load_dword v26, s[20:23], 0 offen lds               // 000000003A08: E0511000 8005001A
	s_add_u32 m0, 0x100, s51                                   // 000000003A10: 807C33FF 00000100
	v_mfma_i32_16x16x32_i8 v[128:131], a[8:9], v[200:201], v[128:131]// 000000003A18: D3D70080 0E039108
	v_mfma_i32_16x16x32_i8 v[128:131], a[10:11], v[202:203], v[128:131]// 000000003A20: D3D70080 0E03950A
	buffer_load_dwordx4 a[132:135], v34, s[92:95], 0 offen offset:1024// 000000003A28: E05C1400 80978422
	v_mfma_i32_16x16x32_i8 v[128:131], a[12:13], v[204:205], v[128:131]// 000000003A30: D3D70080 0E03990C
	v_mfma_i32_16x16x32_i8 v[128:131], a[14:15], v[206:207], v[128:131]// 000000003A38: D3D70080 0E039D0E
	buffer_load_dword v27, s[20:23], 0 offen lds               // 000000003A40: E0511000 8005001B
	s_add_u32 m0, 0x200, s51                                   // 000000003A48: 807C33FF 00000200
	v_mfma_i32_16x16x32_i8 v[132:135], a[0:1], v[208:209], v[132:135]// 000000003A50: D3D70084 0E13A100
	v_mfma_i32_16x16x32_i8 v[132:135], a[2:3], v[210:211], v[132:135]// 000000003A58: D3D70084 0E13A502
	buffer_load_dwordx4 a[136:139], v34, s[92:95], 0 offen offset:2048// 000000003A60: E05C1800 80978822
	v_mfma_i32_16x16x32_i8 v[132:135], a[4:5], v[212:213], v[132:135]// 000000003A68: D3D70084 0E13A904
	v_mfma_i32_16x16x32_i8 v[132:135], a[6:7], v[214:215], v[132:135]// 000000003A70: D3D70084 0E13AD06
	buffer_load_dword v28, s[20:23], 0 offen lds               // 000000003A78: E0511000 8005001C
	s_add_u32 m0, 0x300, s51                                   // 000000003A80: 807C33FF 00000300
	v_mfma_i32_16x16x32_i8 v[132:135], a[8:9], v[216:217], v[132:135]// 000000003A88: D3D70084 0E13B108
	v_mfma_i32_16x16x32_i8 v[132:135], a[10:11], v[218:219], v[132:135]// 000000003A90: D3D70084 0E13B50A
	buffer_load_dwordx4 a[140:143], v34, s[92:95], 0 offen offset:3072// 000000003A98: E05C1C00 80978C22
	v_mfma_i32_16x16x32_i8 v[132:135], a[12:13], v[220:221], v[132:135]// 000000003AA0: D3D70084 0E13B90C
	v_mfma_i32_16x16x32_i8 v[132:135], a[14:15], v[222:223], v[132:135]// 000000003AA8: D3D70084 0E13BD0E
	buffer_load_dword v29, s[20:23], 0 offen lds               // 000000003AB0: E0511000 8005001D
	s_add_u32 m0, 0x400, s51                                   // 000000003AB8: 807C33FF 00000400
	v_mfma_i32_16x16x32_i8 v[136:139], a[16:17], v[192:193], v[136:139]// 000000003AC0: D3D70088 0E238110
	v_mfma_i32_16x16x32_i8 v[136:139], a[18:19], v[194:195], v[136:139]// 000000003AC8: D3D70088 0E238512
	buffer_load_dwordx4 a[144:147], v35, s[92:95], 0 offen     // 000000003AD0: E05C1000 80979023
	v_mfma_i32_16x16x32_i8 v[136:139], a[20:21], v[196:197], v[136:139]// 000000003AD8: D3D70088 0E238914
	v_mfma_i32_16x16x32_i8 v[136:139], a[22:23], v[198:199], v[136:139]// 000000003AE0: D3D70088 0E238D16
	buffer_load_dword v30, s[20:23], 0 offen lds               // 000000003AE8: E0511000 8005001E
	s_add_u32 m0, 0x500, s51                                   // 000000003AF0: 807C33FF 00000500
	v_mfma_i32_16x16x32_i8 v[136:139], a[24:25], v[200:201], v[136:139]// 000000003AF8: D3D70088 0E239118
	v_mfma_i32_16x16x32_i8 v[136:139], a[26:27], v[202:203], v[136:139]// 000000003B00: D3D70088 0E23951A
	buffer_load_dwordx4 a[148:151], v35, s[92:95], 0 offen offset:1024// 000000003B08: E05C1400 80979423
	v_mfma_i32_16x16x32_i8 v[136:139], a[28:29], v[204:205], v[136:139]// 000000003B10: D3D70088 0E23991C
	v_mfma_i32_16x16x32_i8 v[136:139], a[30:31], v[206:207], v[136:139]// 000000003B18: D3D70088 0E239D1E
	buffer_load_dword v31, s[20:23], 0 offen lds               // 000000003B20: E0511000 8005001F
	s_add_u32 m0, 0x600, s51                                   // 000000003B28: 807C33FF 00000600
	v_mfma_i32_16x16x32_i8 v[140:143], a[16:17], v[208:209], v[140:143]// 000000003B30: D3D7008C 0E33A110
	v_mfma_i32_16x16x32_i8 v[140:143], a[18:19], v[210:211], v[140:143]// 000000003B38: D3D7008C 0E33A512
	buffer_load_dwordx4 a[152:155], v35, s[92:95], 0 offen offset:2048// 000000003B40: E05C1800 80979823
	v_mfma_i32_16x16x32_i8 v[140:143], a[20:21], v[212:213], v[140:143]// 000000003B48: D3D7008C 0E33A914
	v_mfma_i32_16x16x32_i8 v[140:143], a[22:23], v[214:215], v[140:143]// 000000003B50: D3D7008C 0E33AD16
	buffer_load_dword v32, s[20:23], 0 offen lds               // 000000003B58: E0511000 80050020
	s_add_u32 m0, 0x700, s51                                   // 000000003B60: 807C33FF 00000700
	v_mfma_i32_16x16x32_i8 v[140:143], a[24:25], v[216:217], v[140:143]// 000000003B68: D3D7008C 0E33B118
	v_mfma_i32_16x16x32_i8 v[140:143], a[26:27], v[218:219], v[140:143]// 000000003B70: D3D7008C 0E33B51A
	buffer_load_dwordx4 a[156:159], v35, s[92:95], 0 offen offset:3072// 000000003B78: E05C1C00 80979C23
	v_mfma_i32_16x16x32_i8 v[140:143], a[28:29], v[220:221], v[140:143]// 000000003B80: D3D7008C 0E33B91C
	v_mfma_i32_16x16x32_i8 v[140:143], a[30:31], v[222:223], v[140:143]// 000000003B88: D3D7008C 0E33BD1E
	buffer_load_dword v33, s[20:23], 0 offen lds               // 000000003B90: E0511000 80050021
	s_add_u32 m0, 0, s50                                       // 000000003B98: 807C3280
	s_waitcnt vmcnt(36)                                        // 000000003B9C: BF8C8F74
	v_mfma_i32_16x16x32_i8 v[144:147], a[32:33], v[192:193], v[144:147]// 000000003BA0: D3D70090 0E438120
	v_mfma_i32_16x16x32_i8 v[144:147], a[34:35], v[194:195], v[144:147]// 000000003BA8: D3D70090 0E438522
	buffer_load_dwordx4 a[160:163], v36, s[92:95], 0 offen     // 000000003BB0: E05C1000 8097A024
	v_mfma_i32_16x16x32_i8 v[144:147], a[36:37], v[196:197], v[144:147]// 000000003BB8: D3D70090 0E438924
	v_mfma_i32_16x16x32_i8 v[144:147], a[38:39], v[198:199], v[144:147]// 000000003BC0: D3D70090 0E438D26
	v_mfma_i32_16x16x32_i8 v[144:147], a[40:41], v[200:201], v[144:147]// 000000003BC8: D3D70090 0E439128
	v_mfma_i32_16x16x32_i8 v[144:147], a[42:43], v[202:203], v[144:147]// 000000003BD0: D3D70090 0E43952A
	buffer_load_dwordx4 a[164:167], v36, s[92:95], 0 offen offset:1024// 000000003BD8: E05C1400 8097A424
	v_mfma_i32_16x16x32_i8 v[144:147], a[44:45], v[204:205], v[144:147]// 000000003BE0: D3D70090 0E43992C
	v_mfma_i32_16x16x32_i8 v[144:147], a[46:47], v[206:207], v[144:147]// 000000003BE8: D3D70090 0E439D2E
	v_mfma_i32_16x16x32_i8 v[148:151], a[32:33], v[208:209], v[148:151]// 000000003BF0: D3D70094 0E53A120
	v_mfma_i32_16x16x32_i8 v[148:151], a[34:35], v[210:211], v[148:151]// 000000003BF8: D3D70094 0E53A522
	buffer_load_dwordx4 a[168:171], v36, s[92:95], 0 offen offset:2048// 000000003C00: E05C1800 8097A824
	v_mfma_i32_16x16x32_i8 v[148:151], a[36:37], v[212:213], v[148:151]// 000000003C08: D3D70094 0E53A924
	v_mfma_i32_16x16x32_i8 v[148:151], a[38:39], v[214:215], v[148:151]// 000000003C10: D3D70094 0E53AD26
	v_mfma_i32_16x16x32_i8 v[148:151], a[40:41], v[216:217], v[148:151]// 000000003C18: D3D70094 0E53B128
	v_mfma_i32_16x16x32_i8 v[148:151], a[42:43], v[218:219], v[148:151]// 000000003C20: D3D70094 0E53B52A
	buffer_load_dwordx4 a[172:175], v36, s[92:95], 0 offen offset:3072// 000000003C28: E05C1C00 8097AC24
	v_mfma_i32_16x16x32_i8 v[148:151], a[44:45], v[220:221], v[148:151]// 000000003C30: D3D70094 0E53B92C
	v_mfma_i32_16x16x32_i8 v[148:151], a[46:47], v[222:223], v[148:151]// 000000003C38: D3D70094 0E53BD2E
	s_waitcnt vmcnt(36)                                        // 000000003C40: BF8C8F74
	v_mfma_i32_16x16x32_i8 v[152:155], a[48:49], v[192:193], v[152:155]// 000000003C44: D3D70098 0E638130
	v_mfma_i32_16x16x32_i8 v[152:155], a[50:51], v[194:195], v[152:155]// 000000003C4C: D3D70098 0E638532
	buffer_load_dwordx4 a[176:179], v37, s[92:95], 0 offen     // 000000003C54: E05C1000 8097B025
	v_mfma_i32_16x16x32_i8 v[152:155], a[52:53], v[196:197], v[152:155]// 000000003C5C: D3D70098 0E638934
	v_mfma_i32_16x16x32_i8 v[152:155], a[54:55], v[198:199], v[152:155]// 000000003C64: D3D70098 0E638D36
	v_mfma_i32_16x16x32_i8 v[152:155], a[56:57], v[200:201], v[152:155]// 000000003C6C: D3D70098 0E639138
	v_mfma_i32_16x16x32_i8 v[152:155], a[58:59], v[202:203], v[152:155]// 000000003C74: D3D70098 0E63953A
	buffer_load_dwordx4 a[180:183], v37, s[92:95], 0 offen offset:1024// 000000003C7C: E05C1400 8097B425
	v_mfma_i32_16x16x32_i8 v[152:155], a[60:61], v[204:205], v[152:155]// 000000003C84: D3D70098 0E63993C
	v_mfma_i32_16x16x32_i8 v[152:155], a[62:63], v[206:207], v[152:155]// 000000003C8C: D3D70098 0E639D3E
	v_mfma_i32_16x16x32_i8 v[156:159], a[48:49], v[208:209], v[156:159]// 000000003C94: D3D7009C 0E73A130
	v_mfma_i32_16x16x32_i8 v[156:159], a[50:51], v[210:211], v[156:159]// 000000003C9C: D3D7009C 0E73A532
	buffer_load_dwordx4 a[184:187], v37, s[92:95], 0 offen offset:2048// 000000003CA4: E05C1800 8097B825
	v_mfma_i32_16x16x32_i8 v[156:159], a[52:53], v[212:213], v[156:159]// 000000003CAC: D3D7009C 0E73A934
	v_mfma_i32_16x16x32_i8 v[156:159], a[54:55], v[214:215], v[156:159]// 000000003CB4: D3D7009C 0E73AD36
	v_mfma_i32_16x16x32_i8 v[156:159], a[56:57], v[216:217], v[156:159]// 000000003CBC: D3D7009C 0E73B138
	v_mfma_i32_16x16x32_i8 v[156:159], a[58:59], v[218:219], v[156:159]// 000000003CC4: D3D7009C 0E73B53A
	buffer_load_dwordx4 a[188:191], v37, s[92:95], 0 offen offset:3072// 000000003CCC: E05C1C00 8097BC25
	v_mfma_i32_16x16x32_i8 v[156:159], a[60:61], v[220:221], v[156:159]// 000000003CD4: D3D7009C 0E73B93C
	v_mfma_i32_16x16x32_i8 v[156:159], a[62:63], v[222:223], v[156:159]// 000000003CDC: D3D7009C 0E73BD3E
	s_waitcnt vmcnt(36)                                        // 000000003CE4: BF8C8F74
	v_mfma_i32_16x16x32_i8 v[160:163], a[64:65], v[192:193], v[160:163]// 000000003CE8: D3D700A0 0E838140
	v_mfma_i32_16x16x32_i8 v[160:163], a[66:67], v[194:195], v[160:163]// 000000003CF0: D3D700A0 0E838542
	buffer_load_dwordx4 a[192:195], v38, s[92:95], 0 offen     // 000000003CF8: E05C1000 8097C026
	v_mfma_i32_16x16x32_i8 v[160:163], a[68:69], v[196:197], v[160:163]// 000000003D00: D3D700A0 0E838944
	v_mfma_i32_16x16x32_i8 v[160:163], a[70:71], v[198:199], v[160:163]// 000000003D08: D3D700A0 0E838D46
	v_mfma_i32_16x16x32_i8 v[160:163], a[72:73], v[200:201], v[160:163]// 000000003D10: D3D700A0 0E839148
	v_mfma_i32_16x16x32_i8 v[160:163], a[74:75], v[202:203], v[160:163]// 000000003D18: D3D700A0 0E83954A
	buffer_load_dwordx4 a[196:199], v38, s[92:95], 0 offen offset:1024// 000000003D20: E05C1400 8097C426
	v_mfma_i32_16x16x32_i8 v[160:163], a[76:77], v[204:205], v[160:163]// 000000003D28: D3D700A0 0E83994C
	v_mfma_i32_16x16x32_i8 v[160:163], a[78:79], v[206:207], v[160:163]// 000000003D30: D3D700A0 0E839D4E
	v_mfma_i32_16x16x32_i8 v[164:167], a[64:65], v[208:209], v[164:167]// 000000003D38: D3D700A4 0E93A140
	v_mfma_i32_16x16x32_i8 v[164:167], a[66:67], v[210:211], v[164:167]// 000000003D40: D3D700A4 0E93A542
	buffer_load_dwordx4 a[200:203], v38, s[92:95], 0 offen offset:2048// 000000003D48: E05C1800 8097C826
	v_mfma_i32_16x16x32_i8 v[164:167], a[68:69], v[212:213], v[164:167]// 000000003D50: D3D700A4 0E93A944
	v_mfma_i32_16x16x32_i8 v[164:167], a[70:71], v[214:215], v[164:167]// 000000003D58: D3D700A4 0E93AD46
	v_mfma_i32_16x16x32_i8 v[164:167], a[72:73], v[216:217], v[164:167]// 000000003D60: D3D700A4 0E93B148
	v_mfma_i32_16x16x32_i8 v[164:167], a[74:75], v[218:219], v[164:167]// 000000003D68: D3D700A4 0E93B54A
	buffer_load_dwordx4 a[204:207], v38, s[92:95], 0 offen offset:3072// 000000003D70: E05C1C00 8097CC26
	v_mfma_i32_16x16x32_i8 v[164:167], a[76:77], v[220:221], v[164:167]// 000000003D78: D3D700A4 0E93B94C
	v_mfma_i32_16x16x32_i8 v[164:167], a[78:79], v[222:223], v[164:167]// 000000003D80: D3D700A4 0E93BD4E
	s_waitcnt vmcnt(36)                                        // 000000003D88: BF8C8F74
	v_mfma_i32_16x16x32_i8 v[168:171], a[80:81], v[192:193], v[168:171]// 000000003D8C: D3D700A8 0EA38150
	v_mfma_i32_16x16x32_i8 v[168:171], a[82:83], v[194:195], v[168:171]// 000000003D94: D3D700A8 0EA38552
	buffer_load_dwordx4 a[208:211], v39, s[92:95], 0 offen     // 000000003D9C: E05C1000 8097D027
	v_mfma_i32_16x16x32_i8 v[168:171], a[84:85], v[196:197], v[168:171]// 000000003DA4: D3D700A8 0EA38954
	v_mfma_i32_16x16x32_i8 v[168:171], a[86:87], v[198:199], v[168:171]// 000000003DAC: D3D700A8 0EA38D56
	v_mfma_i32_16x16x32_i8 v[168:171], a[88:89], v[200:201], v[168:171]// 000000003DB4: D3D700A8 0EA39158
	v_mfma_i32_16x16x32_i8 v[168:171], a[90:91], v[202:203], v[168:171]// 000000003DBC: D3D700A8 0EA3955A
	buffer_load_dwordx4 a[212:215], v39, s[92:95], 0 offen offset:1024// 000000003DC4: E05C1400 8097D427
	v_mfma_i32_16x16x32_i8 v[168:171], a[92:93], v[204:205], v[168:171]// 000000003DCC: D3D700A8 0EA3995C
	v_mfma_i32_16x16x32_i8 v[168:171], a[94:95], v[206:207], v[168:171]// 000000003DD4: D3D700A8 0EA39D5E
	v_mfma_i32_16x16x32_i8 v[172:175], a[80:81], v[208:209], v[172:175]// 000000003DDC: D3D700AC 0EB3A150
	v_mfma_i32_16x16x32_i8 v[172:175], a[82:83], v[210:211], v[172:175]// 000000003DE4: D3D700AC 0EB3A552
	buffer_load_dwordx4 a[216:219], v39, s[92:95], 0 offen offset:2048// 000000003DEC: E05C1800 8097D827
	v_mfma_i32_16x16x32_i8 v[172:175], a[84:85], v[212:213], v[172:175]// 000000003DF4: D3D700AC 0EB3A954
	v_mfma_i32_16x16x32_i8 v[172:175], a[86:87], v[214:215], v[172:175]// 000000003DFC: D3D700AC 0EB3AD56
	v_mfma_i32_16x16x32_i8 v[172:175], a[88:89], v[216:217], v[172:175]// 000000003E04: D3D700AC 0EB3B158
	v_mfma_i32_16x16x32_i8 v[172:175], a[90:91], v[218:219], v[172:175]// 000000003E0C: D3D700AC 0EB3B55A
	buffer_load_dwordx4 a[220:223], v39, s[92:95], 0 offen offset:3072// 000000003E14: E05C1C00 8097DC27
	v_mfma_i32_16x16x32_i8 v[172:175], a[92:93], v[220:221], v[172:175]// 000000003E1C: D3D700AC 0EB3B95C
	v_mfma_i32_16x16x32_i8 v[172:175], a[94:95], v[222:223], v[172:175]// 000000003E24: D3D700AC 0EB3BD5E
	s_waitcnt vmcnt(36)                                        // 000000003E2C: BF8C8F74
	v_mfma_i32_16x16x32_i8 v[176:179], a[96:97], v[192:193], v[176:179]// 000000003E30: D3D700B0 0EC38160
	v_mfma_i32_16x16x32_i8 v[176:179], a[98:99], v[194:195], v[176:179]// 000000003E38: D3D700B0 0EC38562
	buffer_load_dwordx4 a[224:227], v40, s[92:95], 0 offen     // 000000003E40: E05C1000 8097E028
	v_mfma_i32_16x16x32_i8 v[176:179], a[100:101], v[196:197], v[176:179]// 000000003E48: D3D700B0 0EC38964
	v_mfma_i32_16x16x32_i8 v[176:179], a[102:103], v[198:199], v[176:179]// 000000003E50: D3D700B0 0EC38D66
	v_mfma_i32_16x16x32_i8 v[176:179], a[104:105], v[200:201], v[176:179]// 000000003E58: D3D700B0 0EC39168
	v_mfma_i32_16x16x32_i8 v[176:179], a[106:107], v[202:203], v[176:179]// 000000003E60: D3D700B0 0EC3956A
	buffer_load_dwordx4 a[228:231], v40, s[92:95], 0 offen offset:1024// 000000003E68: E05C1400 8097E428
	v_mfma_i32_16x16x32_i8 v[176:179], a[108:109], v[204:205], v[176:179]// 000000003E70: D3D700B0 0EC3996C
	v_mfma_i32_16x16x32_i8 v[176:179], a[110:111], v[206:207], v[176:179]// 000000003E78: D3D700B0 0EC39D6E
	v_mfma_i32_16x16x32_i8 v[180:183], a[96:97], v[208:209], v[180:183]// 000000003E80: D3D700B4 0ED3A160
	v_mfma_i32_16x16x32_i8 v[180:183], a[98:99], v[210:211], v[180:183]// 000000003E88: D3D700B4 0ED3A562
	buffer_load_dwordx4 a[232:235], v40, s[92:95], 0 offen offset:2048// 000000003E90: E05C1800 8097E828
	v_mfma_i32_16x16x32_i8 v[180:183], a[100:101], v[212:213], v[180:183]// 000000003E98: D3D700B4 0ED3A964
	v_mfma_i32_16x16x32_i8 v[180:183], a[102:103], v[214:215], v[180:183]// 000000003EA0: D3D700B4 0ED3AD66
	v_mfma_i32_16x16x32_i8 v[180:183], a[104:105], v[216:217], v[180:183]// 000000003EA8: D3D700B4 0ED3B168
	v_mfma_i32_16x16x32_i8 v[180:183], a[106:107], v[218:219], v[180:183]// 000000003EB0: D3D700B4 0ED3B56A
	buffer_load_dwordx4 a[236:239], v40, s[92:95], 0 offen offset:3072// 000000003EB8: E05C1C00 8097EC28
	v_mfma_i32_16x16x32_i8 v[180:183], a[108:109], v[220:221], v[180:183]// 000000003EC0: D3D700B4 0ED3B96C
	v_mfma_i32_16x16x32_i8 v[180:183], a[110:111], v[222:223], v[180:183]// 000000003EC8: D3D700B4 0ED3BD6E
	s_waitcnt vmcnt(36)                                        // 000000003ED0: BF8C8F74
	v_mfma_i32_16x16x32_i8 v[184:187], a[112:113], v[192:193], v[184:187]// 000000003ED4: D3D700B8 0EE38170
	v_mfma_i32_16x16x32_i8 v[184:187], a[114:115], v[194:195], v[184:187]// 000000003EDC: D3D700B8 0EE38572
	buffer_load_dwordx4 a[240:243], v41, s[92:95], 0 offen     // 000000003EE4: E05C1000 8097F029
	v_mfma_i32_16x16x32_i8 v[184:187], a[116:117], v[196:197], v[184:187]// 000000003EEC: D3D700B8 0EE38974
	v_mfma_i32_16x16x32_i8 v[184:187], a[118:119], v[198:199], v[184:187]// 000000003EF4: D3D700B8 0EE38D76
	v_mfma_i32_16x16x32_i8 v[184:187], a[120:121], v[200:201], v[184:187]// 000000003EFC: D3D700B8 0EE39178
	v_mfma_i32_16x16x32_i8 v[184:187], a[122:123], v[202:203], v[184:187]// 000000003F04: D3D700B8 0EE3957A
	buffer_load_dwordx4 a[244:247], v41, s[92:95], 0 offen offset:1024// 000000003F0C: E05C1400 8097F429
	v_mfma_i32_16x16x32_i8 v[184:187], a[124:125], v[204:205], v[184:187]// 000000003F14: D3D700B8 0EE3997C
	v_mfma_i32_16x16x32_i8 v[184:187], a[126:127], v[206:207], v[184:187]// 000000003F1C: D3D700B8 0EE39D7E
	v_mfma_i32_16x16x32_i8 v[188:191], a[112:113], v[208:209], v[188:191]// 000000003F24: D3D700BC 0EF3A170
	v_mfma_i32_16x16x32_i8 v[188:191], a[114:115], v[210:211], v[188:191]// 000000003F2C: D3D700BC 0EF3A572
	buffer_load_dwordx4 a[248:251], v41, s[92:95], 0 offen offset:2048// 000000003F34: E05C1800 8097F829
	v_mfma_i32_16x16x32_i8 v[188:191], a[116:117], v[212:213], v[188:191]// 000000003F3C: D3D700BC 0EF3A974
	v_mfma_i32_16x16x32_i8 v[188:191], a[118:119], v[214:215], v[188:191]// 000000003F44: D3D700BC 0EF3AD76
	v_mfma_i32_16x16x32_i8 v[188:191], a[120:121], v[216:217], v[188:191]// 000000003F4C: D3D700BC 0EF3B178
	v_mfma_i32_16x16x32_i8 v[188:191], a[122:123], v[218:219], v[188:191]// 000000003F54: D3D700BC 0EF3B57A
	buffer_load_dwordx4 a[252:255], v41, s[92:95], 0 offen offset:3072// 000000003F5C: E05C1C00 8097FC29
	v_mfma_i32_16x16x32_i8 v[188:191], a[124:125], v[220:221], v[188:191]// 000000003F64: D3D700BC 0EF3B97C
	v_mfma_i32_16x16x32_i8 v[188:191], a[126:127], v[222:223], v[188:191]// 000000003F6C: D3D700BC 0EF3BD7E
	s_waitcnt vmcnt(24)                                        // 000000003F74: BF8C4F78
	s_barrier                                                  // 000000003F78: BF8A0000
	v_mfma_i32_16x16x32_i8 v[64:67], a[128:129], v[192:193], v[64:67]// 000000003F7C: D3D70040 0D038180
	v_mfma_i32_16x16x32_i8 v[64:67], a[130:131], v[194:195], v[64:67]// 000000003F84: D3D70040 0D038582
	buffer_load_dwordx4 a[0:3], v34, s[24:27], 0 offen         // 000000003F8C: E05C1000 80860022
	v_mfma_i32_16x16x32_i8 v[64:67], a[132:133], v[196:197], v[64:67]// 000000003F94: D3D70040 0D038984
	v_mfma_i32_16x16x32_i8 v[64:67], a[134:135], v[198:199], v[64:67]// 000000003F9C: D3D70040 0D038D86
	v_mfma_i32_16x16x32_i8 v[64:67], a[136:137], v[200:201], v[64:67]// 000000003FA4: D3D70040 0D039188
	v_mfma_i32_16x16x32_i8 v[64:67], a[138:139], v[202:203], v[64:67]// 000000003FAC: D3D70040 0D03958A
	buffer_load_dwordx4 a[4:7], v34, s[24:27], 0 offen offset:1024// 000000003FB4: E05C1400 80860422
	v_mfma_i32_16x16x32_i8 v[64:67], a[140:141], v[204:205], v[64:67]// 000000003FBC: D3D70040 0D03998C
	v_mfma_i32_16x16x32_i8 v[64:67], a[142:143], v[206:207], v[64:67]// 000000003FC4: D3D70040 0D039D8E
	v_mfma_i32_16x16x32_i8 v[68:71], a[128:129], v[208:209], v[68:71]// 000000003FCC: D3D70044 0D13A180
	v_mfma_i32_16x16x32_i8 v[68:71], a[130:131], v[210:211], v[68:71]// 000000003FD4: D3D70044 0D13A582
	buffer_load_dwordx4 a[8:11], v34, s[24:27], 0 offen offset:2048// 000000003FDC: E05C1800 80860822
	v_mfma_i32_16x16x32_i8 v[68:71], a[132:133], v[212:213], v[68:71]// 000000003FE4: D3D70044 0D13A984
	v_mfma_i32_16x16x32_i8 v[68:71], a[134:135], v[214:215], v[68:71]// 000000003FEC: D3D70044 0D13AD86
	v_mfma_i32_16x16x32_i8 v[68:71], a[136:137], v[216:217], v[68:71]// 000000003FF4: D3D70044 0D13B188
	v_mfma_i32_16x16x32_i8 v[68:71], a[138:139], v[218:219], v[68:71]// 000000003FFC: D3D70044 0D13B58A
	buffer_load_dwordx4 a[12:15], v34, s[24:27], 0 offen offset:3072// 000000004004: E05C1C00 80860C22
	v_mfma_i32_16x16x32_i8 v[68:71], a[140:141], v[220:221], v[68:71]// 00000000400C: D3D70044 0D13B98C
	v_mfma_i32_16x16x32_i8 v[68:71], a[142:143], v[222:223], v[68:71]// 000000004014: D3D70044 0D13BD8E
	v_mfma_i32_16x16x32_i8 v[72:75], a[144:145], v[192:193], v[72:75]// 00000000401C: D3D70048 0D238190
	v_mfma_i32_16x16x32_i8 v[72:75], a[146:147], v[194:195], v[72:75]// 000000004024: D3D70048 0D238592
	buffer_load_dwordx4 a[16:19], v35, s[24:27], 0 offen       // 00000000402C: E05C1000 80861023
	v_mfma_i32_16x16x32_i8 v[72:75], a[148:149], v[196:197], v[72:75]// 000000004034: D3D70048 0D238994
	v_mfma_i32_16x16x32_i8 v[72:75], a[150:151], v[198:199], v[72:75]// 00000000403C: D3D70048 0D238D96
	v_mfma_i32_16x16x32_i8 v[72:75], a[152:153], v[200:201], v[72:75]// 000000004044: D3D70048 0D239198
	v_mfma_i32_16x16x32_i8 v[72:75], a[154:155], v[202:203], v[72:75]// 00000000404C: D3D70048 0D23959A
	buffer_load_dwordx4 a[20:23], v35, s[24:27], 0 offen offset:1024// 000000004054: E05C1400 80861423
	v_mfma_i32_16x16x32_i8 v[72:75], a[156:157], v[204:205], v[72:75]// 00000000405C: D3D70048 0D23999C
	v_mfma_i32_16x16x32_i8 v[72:75], a[158:159], v[206:207], v[72:75]// 000000004064: D3D70048 0D239D9E
	v_mfma_i32_16x16x32_i8 v[76:79], a[144:145], v[208:209], v[76:79]// 00000000406C: D3D7004C 0D33A190
	v_mfma_i32_16x16x32_i8 v[76:79], a[146:147], v[210:211], v[76:79]// 000000004074: D3D7004C 0D33A592
	buffer_load_dwordx4 a[24:27], v35, s[24:27], 0 offen offset:2048// 00000000407C: E05C1800 80861823
	v_mfma_i32_16x16x32_i8 v[76:79], a[148:149], v[212:213], v[76:79]// 000000004084: D3D7004C 0D33A994
	v_mfma_i32_16x16x32_i8 v[76:79], a[150:151], v[214:215], v[76:79]// 00000000408C: D3D7004C 0D33AD96
	v_mfma_i32_16x16x32_i8 v[76:79], a[152:153], v[216:217], v[76:79]// 000000004094: D3D7004C 0D33B198
	v_mfma_i32_16x16x32_i8 v[76:79], a[154:155], v[218:219], v[76:79]// 00000000409C: D3D7004C 0D33B59A
	buffer_load_dwordx4 a[28:31], v35, s[24:27], 0 offen offset:3072// 0000000040A4: E05C1C00 80861C23
	v_mfma_i32_16x16x32_i8 v[76:79], a[156:157], v[220:221], v[76:79]// 0000000040AC: D3D7004C 0D33B99C
	v_mfma_i32_16x16x32_i8 v[76:79], a[158:159], v[222:223], v[76:79]// 0000000040B4: D3D7004C 0D33BD9E
	s_waitcnt vmcnt(28)                                        // 0000000040BC: BF8C4F7C
	v_mfma_i32_16x16x32_i8 v[80:83], a[160:161], v[192:193], v[80:83]// 0000000040C0: D3D70050 0D4381A0
	v_mfma_i32_16x16x32_i8 v[80:83], a[162:163], v[194:195], v[80:83]// 0000000040C8: D3D70050 0D4385A2
	buffer_load_dwordx4 a[32:35], v36, s[24:27], 0 offen       // 0000000040D0: E05C1000 80862024
	v_mfma_i32_16x16x32_i8 v[80:83], a[164:165], v[196:197], v[80:83]// 0000000040D8: D3D70050 0D4389A4
	v_mfma_i32_16x16x32_i8 v[80:83], a[166:167], v[198:199], v[80:83]// 0000000040E0: D3D70050 0D438DA6
	ds_read_b128 v[224:227], v2 offset:8320                    // 0000000040E8: D9FE2080 E0000002
	v_mfma_i32_16x16x32_i8 v[80:83], a[168:169], v[200:201], v[80:83]// 0000000040F0: D3D70050 0D4391A8
	v_mfma_i32_16x16x32_i8 v[80:83], a[170:171], v[202:203], v[80:83]// 0000000040F8: D3D70050 0D4395AA
	buffer_load_dwordx4 a[36:39], v36, s[24:27], 0 offen offset:1024// 000000004100: E05C1400 80862424
	v_mfma_i32_16x16x32_i8 v[80:83], a[172:173], v[204:205], v[80:83]// 000000004108: D3D70050 0D4399AC
	v_mfma_i32_16x16x32_i8 v[80:83], a[174:175], v[206:207], v[80:83]// 000000004110: D3D70050 0D439DAE
	ds_read_b128 v[228:231], v2 offset:8384                    // 000000004118: D9FE20C0 E4000002
	v_mfma_i32_16x16x32_i8 v[84:87], a[160:161], v[208:209], v[84:87]// 000000004120: D3D70054 0D53A1A0
	v_mfma_i32_16x16x32_i8 v[84:87], a[162:163], v[210:211], v[84:87]// 000000004128: D3D70054 0D53A5A2
	buffer_load_dwordx4 a[40:43], v36, s[24:27], 0 offen offset:2048// 000000004130: E05C1800 80862824
	v_mfma_i32_16x16x32_i8 v[84:87], a[164:165], v[212:213], v[84:87]// 000000004138: D3D70054 0D53A9A4
	v_mfma_i32_16x16x32_i8 v[84:87], a[166:167], v[214:215], v[84:87]// 000000004140: D3D70054 0D53ADA6
	ds_read_b128 v[232:235], v2 offset:8448                    // 000000004148: D9FE2100 E8000002
	v_mfma_i32_16x16x32_i8 v[84:87], a[168:169], v[216:217], v[84:87]// 000000004150: D3D70054 0D53B1A8
	v_mfma_i32_16x16x32_i8 v[84:87], a[170:171], v[218:219], v[84:87]// 000000004158: D3D70054 0D53B5AA
	buffer_load_dwordx4 a[44:47], v36, s[24:27], 0 offen offset:3072// 000000004160: E05C1C00 80862C24
	v_mfma_i32_16x16x32_i8 v[84:87], a[172:173], v[220:221], v[84:87]// 000000004168: D3D70054 0D53B9AC
	v_mfma_i32_16x16x32_i8 v[84:87], a[174:175], v[222:223], v[84:87]// 000000004170: D3D70054 0D53BDAE
	ds_read_b128 v[236:239], v2 offset:8512                    // 000000004178: D9FE2140 EC000002
	s_waitcnt vmcnt(28)                                        // 000000004180: BF8C4F7C
	v_mfma_i32_16x16x32_i8 v[88:91], a[176:177], v[192:193], v[88:91]// 000000004184: D3D70058 0D6381B0
	v_mfma_i32_16x16x32_i8 v[88:91], a[178:179], v[194:195], v[88:91]// 00000000418C: D3D70058 0D6385B2
	buffer_load_dwordx4 a[48:51], v37, s[24:27], 0 offen       // 000000004194: E05C1000 80863025
	v_mfma_i32_16x16x32_i8 v[88:91], a[180:181], v[196:197], v[88:91]// 00000000419C: D3D70058 0D6389B4
	v_mfma_i32_16x16x32_i8 v[88:91], a[182:183], v[198:199], v[88:91]// 0000000041A4: D3D70058 0D638DB6
	ds_read_b128 v[240:243], v2 offset:9344                    // 0000000041AC: D9FE2480 F0000002
	v_mfma_i32_16x16x32_i8 v[88:91], a[184:185], v[200:201], v[88:91]// 0000000041B4: D3D70058 0D6391B8
	v_mfma_i32_16x16x32_i8 v[88:91], a[186:187], v[202:203], v[88:91]// 0000000041BC: D3D70058 0D6395BA
	buffer_load_dwordx4 a[52:55], v37, s[24:27], 0 offen offset:1024// 0000000041C4: E05C1400 80863425
	v_mfma_i32_16x16x32_i8 v[88:91], a[188:189], v[204:205], v[88:91]// 0000000041CC: D3D70058 0D6399BC
	v_mfma_i32_16x16x32_i8 v[88:91], a[190:191], v[206:207], v[88:91]// 0000000041D4: D3D70058 0D639DBE
	ds_read_b128 v[244:247], v2 offset:9408                    // 0000000041DC: D9FE24C0 F4000002
	v_mfma_i32_16x16x32_i8 v[92:95], a[176:177], v[208:209], v[92:95]// 0000000041E4: D3D7005C 0D73A1B0
	v_mfma_i32_16x16x32_i8 v[92:95], a[178:179], v[210:211], v[92:95]// 0000000041EC: D3D7005C 0D73A5B2
	buffer_load_dwordx4 a[56:59], v37, s[24:27], 0 offen offset:2048// 0000000041F4: E05C1800 80863825
	v_mfma_i32_16x16x32_i8 v[92:95], a[180:181], v[212:213], v[92:95]// 0000000041FC: D3D7005C 0D73A9B4
	v_mfma_i32_16x16x32_i8 v[92:95], a[182:183], v[214:215], v[92:95]// 000000004204: D3D7005C 0D73ADB6
	ds_read_b128 v[248:251], v2 offset:9472                    // 00000000420C: D9FE2500 F8000002
	v_mfma_i32_16x16x32_i8 v[92:95], a[184:185], v[216:217], v[92:95]// 000000004214: D3D7005C 0D73B1B8
	v_mfma_i32_16x16x32_i8 v[92:95], a[186:187], v[218:219], v[92:95]// 00000000421C: D3D7005C 0D73B5BA
	buffer_load_dwordx4 a[60:63], v37, s[24:27], 0 offen offset:3072// 000000004224: E05C1C00 80863C25
	v_mfma_i32_16x16x32_i8 v[92:95], a[188:189], v[220:221], v[92:95]// 00000000422C: D3D7005C 0D73B9BC
	v_mfma_i32_16x16x32_i8 v[92:95], a[190:191], v[222:223], v[92:95]// 000000004234: D3D7005C 0D73BDBE
	ds_read_b128 v[252:255], v2 offset:9536                    // 00000000423C: D9FE2540 FC000002
	s_waitcnt vmcnt(28)                                        // 000000004244: BF8C4F7C
	v_mfma_i32_16x16x32_i8 v[96:99], a[192:193], v[192:193], v[96:99]// 000000004248: D3D70060 0D8381C0
	v_mfma_i32_16x16x32_i8 v[96:99], a[194:195], v[194:195], v[96:99]// 000000004250: D3D70060 0D8385C2
	buffer_load_dwordx4 a[64:67], v38, s[24:27], 0 offen       // 000000004258: E05C1000 80864026
	v_mfma_i32_16x16x32_i8 v[96:99], a[196:197], v[196:197], v[96:99]// 000000004260: D3D70060 0D8389C4
	v_mfma_i32_16x16x32_i8 v[96:99], a[198:199], v[198:199], v[96:99]// 000000004268: D3D70060 0D838DC6
	v_mfma_i32_16x16x32_i8 v[96:99], a[200:201], v[200:201], v[96:99]// 000000004270: D3D70060 0D8391C8
	v_mfma_i32_16x16x32_i8 v[96:99], a[202:203], v[202:203], v[96:99]// 000000004278: D3D70060 0D8395CA
	buffer_load_dwordx4 a[68:71], v38, s[24:27], 0 offen offset:1024// 000000004280: E05C1400 80864426
	v_mfma_i32_16x16x32_i8 v[96:99], a[204:205], v[204:205], v[96:99]// 000000004288: D3D70060 0D8399CC
	v_mfma_i32_16x16x32_i8 v[96:99], a[206:207], v[206:207], v[96:99]// 000000004290: D3D70060 0D839DCE
	v_mfma_i32_16x16x32_i8 v[100:103], a[192:193], v[208:209], v[100:103]// 000000004298: D3D70064 0D93A1C0
	v_mfma_i32_16x16x32_i8 v[100:103], a[194:195], v[210:211], v[100:103]// 0000000042A0: D3D70064 0D93A5C2
	buffer_load_dwordx4 a[72:75], v38, s[24:27], 0 offen offset:2048// 0000000042A8: E05C1800 80864826
	v_mfma_i32_16x16x32_i8 v[100:103], a[196:197], v[212:213], v[100:103]// 0000000042B0: D3D70064 0D93A9C4
	v_mfma_i32_16x16x32_i8 v[100:103], a[198:199], v[214:215], v[100:103]// 0000000042B8: D3D70064 0D93ADC6
	v_mfma_i32_16x16x32_i8 v[100:103], a[200:201], v[216:217], v[100:103]// 0000000042C0: D3D70064 0D93B1C8
	v_mfma_i32_16x16x32_i8 v[100:103], a[202:203], v[218:219], v[100:103]// 0000000042C8: D3D70064 0D93B5CA
	buffer_load_dwordx4 a[76:79], v38, s[24:27], 0 offen offset:3072// 0000000042D0: E05C1C00 80864C26
	v_mfma_i32_16x16x32_i8 v[100:103], a[204:205], v[220:221], v[100:103]// 0000000042D8: D3D70064 0D93B9CC
	v_mfma_i32_16x16x32_i8 v[100:103], a[206:207], v[222:223], v[100:103]// 0000000042E0: D3D70064 0D93BDCE
	s_waitcnt vmcnt(28)                                        // 0000000042E8: BF8C4F7C
	v_mfma_i32_16x16x32_i8 v[104:107], a[208:209], v[192:193], v[104:107]// 0000000042EC: D3D70068 0DA381D0
	v_mfma_i32_16x16x32_i8 v[104:107], a[210:211], v[194:195], v[104:107]// 0000000042F4: D3D70068 0DA385D2
	buffer_load_dwordx4 a[80:83], v39, s[24:27], 0 offen       // 0000000042FC: E05C1000 80865027
	v_mfma_i32_16x16x32_i8 v[104:107], a[212:213], v[196:197], v[104:107]// 000000004304: D3D70068 0DA389D4
	v_mfma_i32_16x16x32_i8 v[104:107], a[214:215], v[198:199], v[104:107]// 00000000430C: D3D70068 0DA38DD6
	v_mfma_i32_16x16x32_i8 v[104:107], a[216:217], v[200:201], v[104:107]// 000000004314: D3D70068 0DA391D8
	v_mfma_i32_16x16x32_i8 v[104:107], a[218:219], v[202:203], v[104:107]// 00000000431C: D3D70068 0DA395DA
	buffer_load_dwordx4 a[84:87], v39, s[24:27], 0 offen offset:1024// 000000004324: E05C1400 80865427
	v_mfma_i32_16x16x32_i8 v[104:107], a[220:221], v[204:205], v[104:107]// 00000000432C: D3D70068 0DA399DC
	v_mfma_i32_16x16x32_i8 v[104:107], a[222:223], v[206:207], v[104:107]// 000000004334: D3D70068 0DA39DDE
	v_mfma_i32_16x16x32_i8 v[108:111], a[208:209], v[208:209], v[108:111]// 00000000433C: D3D7006C 0DB3A1D0
	v_mfma_i32_16x16x32_i8 v[108:111], a[210:211], v[210:211], v[108:111]// 000000004344: D3D7006C 0DB3A5D2
	buffer_load_dwordx4 a[88:91], v39, s[24:27], 0 offen offset:2048// 00000000434C: E05C1800 80865827
	v_mfma_i32_16x16x32_i8 v[108:111], a[212:213], v[212:213], v[108:111]// 000000004354: D3D7006C 0DB3A9D4
	v_mfma_i32_16x16x32_i8 v[108:111], a[214:215], v[214:215], v[108:111]// 00000000435C: D3D7006C 0DB3ADD6
	v_mfma_i32_16x16x32_i8 v[108:111], a[216:217], v[216:217], v[108:111]// 000000004364: D3D7006C 0DB3B1D8
	v_mfma_i32_16x16x32_i8 v[108:111], a[218:219], v[218:219], v[108:111]// 00000000436C: D3D7006C 0DB3B5DA
	buffer_load_dwordx4 a[92:95], v39, s[24:27], 0 offen offset:3072// 000000004374: E05C1C00 80865C27
	v_mfma_i32_16x16x32_i8 v[108:111], a[220:221], v[220:221], v[108:111]// 00000000437C: D3D7006C 0DB3B9DC
	v_mfma_i32_16x16x32_i8 v[108:111], a[222:223], v[222:223], v[108:111]// 000000004384: D3D7006C 0DB3BDDE
	s_waitcnt vmcnt(28)                                        // 00000000438C: BF8C4F7C
	v_mfma_i32_16x16x32_i8 v[112:115], a[224:225], v[192:193], v[112:115]// 000000004390: D3D70070 0DC381E0
	v_mfma_i32_16x16x32_i8 v[112:115], a[226:227], v[194:195], v[112:115]// 000000004398: D3D70070 0DC385E2
	buffer_load_dwordx4 a[96:99], v40, s[24:27], 0 offen       // 0000000043A0: E05C1000 80866028
	v_mfma_i32_16x16x32_i8 v[112:115], a[228:229], v[196:197], v[112:115]// 0000000043A8: D3D70070 0DC389E4
	v_mfma_i32_16x16x32_i8 v[112:115], a[230:231], v[198:199], v[112:115]// 0000000043B0: D3D70070 0DC38DE6
	v_mfma_i32_16x16x32_i8 v[112:115], a[232:233], v[200:201], v[112:115]// 0000000043B8: D3D70070 0DC391E8
	v_mfma_i32_16x16x32_i8 v[112:115], a[234:235], v[202:203], v[112:115]// 0000000043C0: D3D70070 0DC395EA
	buffer_load_dwordx4 a[100:103], v40, s[24:27], 0 offen offset:1024// 0000000043C8: E05C1400 80866428
	v_mfma_i32_16x16x32_i8 v[112:115], a[236:237], v[204:205], v[112:115]// 0000000043D0: D3D70070 0DC399EC
	v_mfma_i32_16x16x32_i8 v[112:115], a[238:239], v[206:207], v[112:115]// 0000000043D8: D3D70070 0DC39DEE
	v_mfma_i32_16x16x32_i8 v[116:119], a[224:225], v[208:209], v[116:119]// 0000000043E0: D3D70074 0DD3A1E0
	v_mfma_i32_16x16x32_i8 v[116:119], a[226:227], v[210:211], v[116:119]// 0000000043E8: D3D70074 0DD3A5E2
	buffer_load_dwordx4 a[104:107], v40, s[24:27], 0 offen offset:2048// 0000000043F0: E05C1800 80866828
	v_mfma_i32_16x16x32_i8 v[116:119], a[228:229], v[212:213], v[116:119]// 0000000043F8: D3D70074 0DD3A9E4
	v_mfma_i32_16x16x32_i8 v[116:119], a[230:231], v[214:215], v[116:119]// 000000004400: D3D70074 0DD3ADE6
	v_mfma_i32_16x16x32_i8 v[116:119], a[232:233], v[216:217], v[116:119]// 000000004408: D3D70074 0DD3B1E8
	v_mfma_i32_16x16x32_i8 v[116:119], a[234:235], v[218:219], v[116:119]// 000000004410: D3D70074 0DD3B5EA
	buffer_load_dwordx4 a[108:111], v40, s[24:27], 0 offen offset:3072// 000000004418: E05C1C00 80866C28
	v_mfma_i32_16x16x32_i8 v[116:119], a[236:237], v[220:221], v[116:119]// 000000004420: D3D70074 0DD3B9EC
	v_mfma_i32_16x16x32_i8 v[116:119], a[238:239], v[222:223], v[116:119]// 000000004428: D3D70074 0DD3BDEE
	s_waitcnt vmcnt(28)                                        // 000000004430: BF8C4F7C
	v_mfma_i32_16x16x32_i8 v[120:123], a[240:241], v[192:193], v[120:123]// 000000004434: D3D70078 0DE381F0
	v_mfma_i32_16x16x32_i8 v[120:123], a[242:243], v[194:195], v[120:123]// 00000000443C: D3D70078 0DE385F2
	buffer_load_dwordx4 a[112:115], v41, s[24:27], 0 offen     // 000000004444: E05C1000 80867029
	v_mfma_i32_16x16x32_i8 v[120:123], a[244:245], v[196:197], v[120:123]// 00000000444C: D3D70078 0DE389F4
	v_mfma_i32_16x16x32_i8 v[120:123], a[246:247], v[198:199], v[120:123]// 000000004454: D3D70078 0DE38DF6
	v_mfma_i32_16x16x32_i8 v[120:123], a[248:249], v[200:201], v[120:123]// 00000000445C: D3D70078 0DE391F8
	v_mfma_i32_16x16x32_i8 v[120:123], a[250:251], v[202:203], v[120:123]// 000000004464: D3D70078 0DE395FA
	buffer_load_dwordx4 a[116:119], v41, s[24:27], 0 offen offset:1024// 00000000446C: E05C1400 80867429
	v_mfma_i32_16x16x32_i8 v[120:123], a[252:253], v[204:205], v[120:123]// 000000004474: D3D70078 0DE399FC
	v_mfma_i32_16x16x32_i8 v[120:123], a[254:255], v[206:207], v[120:123]// 00000000447C: D3D70078 0DE39DFE
	v_mfma_i32_16x16x32_i8 v[124:127], a[240:241], v[208:209], v[124:127]// 000000004484: D3D7007C 0DF3A1F0
	v_mfma_i32_16x16x32_i8 v[124:127], a[242:243], v[210:211], v[124:127]// 00000000448C: D3D7007C 0DF3A5F2
	buffer_load_dwordx4 a[120:123], v41, s[24:27], 0 offen offset:2048// 000000004494: E05C1800 80867829
	v_mfma_i32_16x16x32_i8 v[124:127], a[244:245], v[212:213], v[124:127]// 00000000449C: D3D7007C 0DF3A9F4
	v_mfma_i32_16x16x32_i8 v[124:127], a[246:247], v[214:215], v[124:127]// 0000000044A4: D3D7007C 0DF3ADF6
	v_mfma_i32_16x16x32_i8 v[124:127], a[248:249], v[216:217], v[124:127]// 0000000044AC: D3D7007C 0DF3B1F8
	v_mfma_i32_16x16x32_i8 v[124:127], a[250:251], v[218:219], v[124:127]// 0000000044B4: D3D7007C 0DF3B5FA
	buffer_load_dwordx4 a[124:127], v41, s[24:27], 0 offen offset:3072// 0000000044BC: E05C1C00 80867C29
	v_mfma_i32_16x16x32_i8 v[124:127], a[252:253], v[220:221], v[124:127]// 0000000044C4: D3D7007C 0DF3B9FC
	v_mfma_i32_16x16x32_i8 v[124:127], a[254:255], v[222:223], v[124:127]// 0000000044CC: D3D7007C 0DF3BDFE
	s_add_u32 s60, 0x200, s80                                  // 0000000044D4: 803C50FF 00000200
	s_cmp_lt_u32 s60, s81                                      // 0000000044DC: BF0A513C
	s_cselect_b32 s57, s57, 0                                  // 0000000044E0: 85398039
	s_add_u32 s60, 0x200, s80                                  // 0000000044E4: 803C50FF 00000200
	s_cmp_lt_u32 s60, s81                                      // 0000000044EC: BF0A513C
	s_cselect_b32 s58, s58, 0                                  // 0000000044F0: 853A803A
	s_add_u32 s20, s57, s20                                    // 0000000044F4: 80141439
	s_addc_u32 s21, 0, s21                                     // 0000000044F8: 82151580
	s_add_u32 s24, s58, s24                                    // 0000000044FC: 8018183A
	s_addc_u32 s25, 0, s25                                     // 000000004500: 82191980
	s_add_u32 s92, s90, s92                                    // 000000004504: 805C5C5A
	s_addc_u32 s93, 0, s93                                     // 000000004508: 825D5D80
	s_addk_i32 s80, 0x100                                      // 00000000450C: B7500100
	s_cmp_lt_i32 s80, s81                                      // 000000004510: BF045150
	s_cbranch_scc0 label_0897                                  // 000000004514: BF8402D1
	s_waitcnt vmcnt(24) lgkmcnt(0)                             // 000000004518: BF8C4078
	s_barrier                                                  // 00000000451C: BF8A0000
	v_mfma_i32_16x16x32_i8 v[128:131], a[0:1], v[224:225], v[128:131]// 000000004520: D3D70080 0E03C100
	v_mfma_i32_16x16x32_i8 v[128:131], a[2:3], v[226:227], v[128:131]// 000000004528: D3D70080 0E03C502
	buffer_load_dwordx4 a[128:131], v34, s[92:95], 0 offen     // 000000004530: E05C1000 80978022
	v_mfma_i32_16x16x32_i8 v[128:131], a[4:5], v[228:229], v[128:131]// 000000004538: D3D70080 0E03C904
	v_mfma_i32_16x16x32_i8 v[128:131], a[6:7], v[230:231], v[128:131]// 000000004540: D3D70080 0E03CD06
	buffer_load_dword v26, s[20:23], 0 offen lds               // 000000004548: E0511000 8005001A
	s_add_u32 m0, 0x100, s50                                   // 000000004550: 807C32FF 00000100
	v_mfma_i32_16x16x32_i8 v[128:131], a[8:9], v[232:233], v[128:131]// 000000004558: D3D70080 0E03D108
	v_mfma_i32_16x16x32_i8 v[128:131], a[10:11], v[234:235], v[128:131]// 000000004560: D3D70080 0E03D50A
	buffer_load_dwordx4 a[132:135], v34, s[92:95], 0 offen offset:1024// 000000004568: E05C1400 80978422
	v_mfma_i32_16x16x32_i8 v[128:131], a[12:13], v[236:237], v[128:131]// 000000004570: D3D70080 0E03D90C
	v_mfma_i32_16x16x32_i8 v[128:131], a[14:15], v[238:239], v[128:131]// 000000004578: D3D70080 0E03DD0E
	buffer_load_dword v27, s[20:23], 0 offen lds               // 000000004580: E0511000 8005001B
	s_add_u32 m0, 0x200, s50                                   // 000000004588: 807C32FF 00000200
	v_mfma_i32_16x16x32_i8 v[132:135], a[0:1], v[240:241], v[132:135]// 000000004590: D3D70084 0E13E100
	v_mfma_i32_16x16x32_i8 v[132:135], a[2:3], v[242:243], v[132:135]// 000000004598: D3D70084 0E13E502
	buffer_load_dwordx4 a[136:139], v34, s[92:95], 0 offen offset:2048// 0000000045A0: E05C1800 80978822
	v_mfma_i32_16x16x32_i8 v[132:135], a[4:5], v[244:245], v[132:135]// 0000000045A8: D3D70084 0E13E904
	v_mfma_i32_16x16x32_i8 v[132:135], a[6:7], v[246:247], v[132:135]// 0000000045B0: D3D70084 0E13ED06
	buffer_load_dword v28, s[20:23], 0 offen lds               // 0000000045B8: E0511000 8005001C
	s_add_u32 m0, 0x300, s50                                   // 0000000045C0: 807C32FF 00000300
	v_mfma_i32_16x16x32_i8 v[132:135], a[8:9], v[248:249], v[132:135]// 0000000045C8: D3D70084 0E13F108
	v_mfma_i32_16x16x32_i8 v[132:135], a[10:11], v[250:251], v[132:135]// 0000000045D0: D3D70084 0E13F50A
	buffer_load_dwordx4 a[140:143], v34, s[92:95], 0 offen offset:3072// 0000000045D8: E05C1C00 80978C22
	v_mfma_i32_16x16x32_i8 v[132:135], a[12:13], v[252:253], v[132:135]// 0000000045E0: D3D70084 0E13F90C
	v_mfma_i32_16x16x32_i8 v[132:135], a[14:15], v[254:255], v[132:135]// 0000000045E8: D3D70084 0E13FD0E
	buffer_load_dword v29, s[20:23], 0 offen lds               // 0000000045F0: E0511000 8005001D
	s_add_u32 m0, 0x400, s50                                   // 0000000045F8: 807C32FF 00000400
	v_mfma_i32_16x16x32_i8 v[136:139], a[16:17], v[224:225], v[136:139]// 000000004600: D3D70088 0E23C110
	v_mfma_i32_16x16x32_i8 v[136:139], a[18:19], v[226:227], v[136:139]// 000000004608: D3D70088 0E23C512
	buffer_load_dwordx4 a[144:147], v35, s[92:95], 0 offen     // 000000004610: E05C1000 80979023
	v_mfma_i32_16x16x32_i8 v[136:139], a[20:21], v[228:229], v[136:139]// 000000004618: D3D70088 0E23C914
	v_mfma_i32_16x16x32_i8 v[136:139], a[22:23], v[230:231], v[136:139]// 000000004620: D3D70088 0E23CD16
	buffer_load_dword v30, s[20:23], 0 offen lds               // 000000004628: E0511000 8005001E
	s_add_u32 m0, 0x500, s50                                   // 000000004630: 807C32FF 00000500
	v_mfma_i32_16x16x32_i8 v[136:139], a[24:25], v[232:233], v[136:139]// 000000004638: D3D70088 0E23D118
	v_mfma_i32_16x16x32_i8 v[136:139], a[26:27], v[234:235], v[136:139]// 000000004640: D3D70088 0E23D51A
	buffer_load_dwordx4 a[148:151], v35, s[92:95], 0 offen offset:1024// 000000004648: E05C1400 80979423
	v_mfma_i32_16x16x32_i8 v[136:139], a[28:29], v[236:237], v[136:139]// 000000004650: D3D70088 0E23D91C
	v_mfma_i32_16x16x32_i8 v[136:139], a[30:31], v[238:239], v[136:139]// 000000004658: D3D70088 0E23DD1E
	buffer_load_dword v31, s[20:23], 0 offen lds               // 000000004660: E0511000 8005001F
	s_add_u32 m0, 0x600, s50                                   // 000000004668: 807C32FF 00000600
	v_mfma_i32_16x16x32_i8 v[140:143], a[16:17], v[240:241], v[140:143]// 000000004670: D3D7008C 0E33E110
	v_mfma_i32_16x16x32_i8 v[140:143], a[18:19], v[242:243], v[140:143]// 000000004678: D3D7008C 0E33E512
	buffer_load_dwordx4 a[152:155], v35, s[92:95], 0 offen offset:2048// 000000004680: E05C1800 80979823
	v_mfma_i32_16x16x32_i8 v[140:143], a[20:21], v[244:245], v[140:143]// 000000004688: D3D7008C 0E33E914
	v_mfma_i32_16x16x32_i8 v[140:143], a[22:23], v[246:247], v[140:143]// 000000004690: D3D7008C 0E33ED16
	buffer_load_dword v32, s[20:23], 0 offen lds               // 000000004698: E0511000 80050020
	s_add_u32 m0, 0x700, s50                                   // 0000000046A0: 807C32FF 00000700
	v_mfma_i32_16x16x32_i8 v[140:143], a[24:25], v[248:249], v[140:143]// 0000000046A8: D3D7008C 0E33F118
	v_mfma_i32_16x16x32_i8 v[140:143], a[26:27], v[250:251], v[140:143]// 0000000046B0: D3D7008C 0E33F51A
	buffer_load_dwordx4 a[156:159], v35, s[92:95], 0 offen offset:3072// 0000000046B8: E05C1C00 80979C23
	v_mfma_i32_16x16x32_i8 v[140:143], a[28:29], v[252:253], v[140:143]// 0000000046C0: D3D7008C 0E33F91C
	v_mfma_i32_16x16x32_i8 v[140:143], a[30:31], v[254:255], v[140:143]// 0000000046C8: D3D7008C 0E33FD1E
	buffer_load_dword v33, s[20:23], 0 offen lds               // 0000000046D0: E0511000 80050021
	s_add_u32 m0, 0, s51                                       // 0000000046D8: 807C3380
	s_waitcnt vmcnt(36)                                        // 0000000046DC: BF8C8F74
	v_mfma_i32_16x16x32_i8 v[144:147], a[32:33], v[224:225], v[144:147]// 0000000046E0: D3D70090 0E43C120
	v_mfma_i32_16x16x32_i8 v[144:147], a[34:35], v[226:227], v[144:147]// 0000000046E8: D3D70090 0E43C522
	buffer_load_dwordx4 a[160:163], v36, s[92:95], 0 offen     // 0000000046F0: E05C1000 8097A024
	v_mfma_i32_16x16x32_i8 v[144:147], a[36:37], v[228:229], v[144:147]// 0000000046F8: D3D70090 0E43C924
	v_mfma_i32_16x16x32_i8 v[144:147], a[38:39], v[230:231], v[144:147]// 000000004700: D3D70090 0E43CD26
	v_mfma_i32_16x16x32_i8 v[144:147], a[40:41], v[232:233], v[144:147]// 000000004708: D3D70090 0E43D128
	v_mfma_i32_16x16x32_i8 v[144:147], a[42:43], v[234:235], v[144:147]// 000000004710: D3D70090 0E43D52A
	buffer_load_dwordx4 a[164:167], v36, s[92:95], 0 offen offset:1024// 000000004718: E05C1400 8097A424
	v_mfma_i32_16x16x32_i8 v[144:147], a[44:45], v[236:237], v[144:147]// 000000004720: D3D70090 0E43D92C
	v_mfma_i32_16x16x32_i8 v[144:147], a[46:47], v[238:239], v[144:147]// 000000004728: D3D70090 0E43DD2E
	v_mfma_i32_16x16x32_i8 v[148:151], a[32:33], v[240:241], v[148:151]// 000000004730: D3D70094 0E53E120
	v_mfma_i32_16x16x32_i8 v[148:151], a[34:35], v[242:243], v[148:151]// 000000004738: D3D70094 0E53E522
	buffer_load_dwordx4 a[168:171], v36, s[92:95], 0 offen offset:2048// 000000004740: E05C1800 8097A824
	v_mfma_i32_16x16x32_i8 v[148:151], a[36:37], v[244:245], v[148:151]// 000000004748: D3D70094 0E53E924
	v_mfma_i32_16x16x32_i8 v[148:151], a[38:39], v[246:247], v[148:151]// 000000004750: D3D70094 0E53ED26
	v_mfma_i32_16x16x32_i8 v[148:151], a[40:41], v[248:249], v[148:151]// 000000004758: D3D70094 0E53F128
	v_mfma_i32_16x16x32_i8 v[148:151], a[42:43], v[250:251], v[148:151]// 000000004760: D3D70094 0E53F52A
	buffer_load_dwordx4 a[172:175], v36, s[92:95], 0 offen offset:3072// 000000004768: E05C1C00 8097AC24
	v_mfma_i32_16x16x32_i8 v[148:151], a[44:45], v[252:253], v[148:151]// 000000004770: D3D70094 0E53F92C
	v_mfma_i32_16x16x32_i8 v[148:151], a[46:47], v[254:255], v[148:151]// 000000004778: D3D70094 0E53FD2E
	s_waitcnt vmcnt(36)                                        // 000000004780: BF8C8F74
	v_mfma_i32_16x16x32_i8 v[152:155], a[48:49], v[224:225], v[152:155]// 000000004784: D3D70098 0E63C130
	v_mfma_i32_16x16x32_i8 v[152:155], a[50:51], v[226:227], v[152:155]// 00000000478C: D3D70098 0E63C532
	buffer_load_dwordx4 a[176:179], v37, s[92:95], 0 offen     // 000000004794: E05C1000 8097B025
	v_mfma_i32_16x16x32_i8 v[152:155], a[52:53], v[228:229], v[152:155]// 00000000479C: D3D70098 0E63C934
	v_mfma_i32_16x16x32_i8 v[152:155], a[54:55], v[230:231], v[152:155]// 0000000047A4: D3D70098 0E63CD36
	v_mfma_i32_16x16x32_i8 v[152:155], a[56:57], v[232:233], v[152:155]// 0000000047AC: D3D70098 0E63D138
	v_mfma_i32_16x16x32_i8 v[152:155], a[58:59], v[234:235], v[152:155]// 0000000047B4: D3D70098 0E63D53A
	buffer_load_dwordx4 a[180:183], v37, s[92:95], 0 offen offset:1024// 0000000047BC: E05C1400 8097B425
	v_mfma_i32_16x16x32_i8 v[152:155], a[60:61], v[236:237], v[152:155]// 0000000047C4: D3D70098 0E63D93C
	v_mfma_i32_16x16x32_i8 v[152:155], a[62:63], v[238:239], v[152:155]// 0000000047CC: D3D70098 0E63DD3E
	v_mfma_i32_16x16x32_i8 v[156:159], a[48:49], v[240:241], v[156:159]// 0000000047D4: D3D7009C 0E73E130
	v_mfma_i32_16x16x32_i8 v[156:159], a[50:51], v[242:243], v[156:159]// 0000000047DC: D3D7009C 0E73E532
	buffer_load_dwordx4 a[184:187], v37, s[92:95], 0 offen offset:2048// 0000000047E4: E05C1800 8097B825
	v_mfma_i32_16x16x32_i8 v[156:159], a[52:53], v[244:245], v[156:159]// 0000000047EC: D3D7009C 0E73E934
	v_mfma_i32_16x16x32_i8 v[156:159], a[54:55], v[246:247], v[156:159]// 0000000047F4: D3D7009C 0E73ED36
	v_mfma_i32_16x16x32_i8 v[156:159], a[56:57], v[248:249], v[156:159]// 0000000047FC: D3D7009C 0E73F138
	v_mfma_i32_16x16x32_i8 v[156:159], a[58:59], v[250:251], v[156:159]// 000000004804: D3D7009C 0E73F53A
	buffer_load_dwordx4 a[188:191], v37, s[92:95], 0 offen offset:3072// 00000000480C: E05C1C00 8097BC25
	v_mfma_i32_16x16x32_i8 v[156:159], a[60:61], v[252:253], v[156:159]// 000000004814: D3D7009C 0E73F93C
	v_mfma_i32_16x16x32_i8 v[156:159], a[62:63], v[254:255], v[156:159]// 00000000481C: D3D7009C 0E73FD3E
	s_waitcnt vmcnt(36)                                        // 000000004824: BF8C8F74
	v_mfma_i32_16x16x32_i8 v[160:163], a[64:65], v[224:225], v[160:163]// 000000004828: D3D700A0 0E83C140
	v_mfma_i32_16x16x32_i8 v[160:163], a[66:67], v[226:227], v[160:163]// 000000004830: D3D700A0 0E83C542
	buffer_load_dwordx4 a[192:195], v38, s[92:95], 0 offen     // 000000004838: E05C1000 8097C026
	v_mfma_i32_16x16x32_i8 v[160:163], a[68:69], v[228:229], v[160:163]// 000000004840: D3D700A0 0E83C944
	v_mfma_i32_16x16x32_i8 v[160:163], a[70:71], v[230:231], v[160:163]// 000000004848: D3D700A0 0E83CD46
	v_mfma_i32_16x16x32_i8 v[160:163], a[72:73], v[232:233], v[160:163]// 000000004850: D3D700A0 0E83D148
	v_mfma_i32_16x16x32_i8 v[160:163], a[74:75], v[234:235], v[160:163]// 000000004858: D3D700A0 0E83D54A
	buffer_load_dwordx4 a[196:199], v38, s[92:95], 0 offen offset:1024// 000000004860: E05C1400 8097C426
	v_mfma_i32_16x16x32_i8 v[160:163], a[76:77], v[236:237], v[160:163]// 000000004868: D3D700A0 0E83D94C
	v_mfma_i32_16x16x32_i8 v[160:163], a[78:79], v[238:239], v[160:163]// 000000004870: D3D700A0 0E83DD4E
	v_mfma_i32_16x16x32_i8 v[164:167], a[64:65], v[240:241], v[164:167]// 000000004878: D3D700A4 0E93E140
	v_mfma_i32_16x16x32_i8 v[164:167], a[66:67], v[242:243], v[164:167]// 000000004880: D3D700A4 0E93E542
	buffer_load_dwordx4 a[200:203], v38, s[92:95], 0 offen offset:2048// 000000004888: E05C1800 8097C826
	v_mfma_i32_16x16x32_i8 v[164:167], a[68:69], v[244:245], v[164:167]// 000000004890: D3D700A4 0E93E944
	v_mfma_i32_16x16x32_i8 v[164:167], a[70:71], v[246:247], v[164:167]// 000000004898: D3D700A4 0E93ED46
	v_mfma_i32_16x16x32_i8 v[164:167], a[72:73], v[248:249], v[164:167]// 0000000048A0: D3D700A4 0E93F148
	v_mfma_i32_16x16x32_i8 v[164:167], a[74:75], v[250:251], v[164:167]// 0000000048A8: D3D700A4 0E93F54A
	buffer_load_dwordx4 a[204:207], v38, s[92:95], 0 offen offset:3072// 0000000048B0: E05C1C00 8097CC26
	v_mfma_i32_16x16x32_i8 v[164:167], a[76:77], v[252:253], v[164:167]// 0000000048B8: D3D700A4 0E93F94C
	v_mfma_i32_16x16x32_i8 v[164:167], a[78:79], v[254:255], v[164:167]// 0000000048C0: D3D700A4 0E93FD4E
	s_waitcnt vmcnt(36)                                        // 0000000048C8: BF8C8F74
	v_mfma_i32_16x16x32_i8 v[168:171], a[80:81], v[224:225], v[168:171]// 0000000048CC: D3D700A8 0EA3C150
	v_mfma_i32_16x16x32_i8 v[168:171], a[82:83], v[226:227], v[168:171]// 0000000048D4: D3D700A8 0EA3C552
	buffer_load_dwordx4 a[208:211], v39, s[92:95], 0 offen     // 0000000048DC: E05C1000 8097D027
	v_mfma_i32_16x16x32_i8 v[168:171], a[84:85], v[228:229], v[168:171]// 0000000048E4: D3D700A8 0EA3C954
	v_mfma_i32_16x16x32_i8 v[168:171], a[86:87], v[230:231], v[168:171]// 0000000048EC: D3D700A8 0EA3CD56
	v_mfma_i32_16x16x32_i8 v[168:171], a[88:89], v[232:233], v[168:171]// 0000000048F4: D3D700A8 0EA3D158
	v_mfma_i32_16x16x32_i8 v[168:171], a[90:91], v[234:235], v[168:171]// 0000000048FC: D3D700A8 0EA3D55A
	buffer_load_dwordx4 a[212:215], v39, s[92:95], 0 offen offset:1024// 000000004904: E05C1400 8097D427
	v_mfma_i32_16x16x32_i8 v[168:171], a[92:93], v[236:237], v[168:171]// 00000000490C: D3D700A8 0EA3D95C
	v_mfma_i32_16x16x32_i8 v[168:171], a[94:95], v[238:239], v[168:171]// 000000004914: D3D700A8 0EA3DD5E
	v_mfma_i32_16x16x32_i8 v[172:175], a[80:81], v[240:241], v[172:175]// 00000000491C: D3D700AC 0EB3E150
	v_mfma_i32_16x16x32_i8 v[172:175], a[82:83], v[242:243], v[172:175]// 000000004924: D3D700AC 0EB3E552
	buffer_load_dwordx4 a[216:219], v39, s[92:95], 0 offen offset:2048// 00000000492C: E05C1800 8097D827
	v_mfma_i32_16x16x32_i8 v[172:175], a[84:85], v[244:245], v[172:175]// 000000004934: D3D700AC 0EB3E954
	v_mfma_i32_16x16x32_i8 v[172:175], a[86:87], v[246:247], v[172:175]// 00000000493C: D3D700AC 0EB3ED56
	v_mfma_i32_16x16x32_i8 v[172:175], a[88:89], v[248:249], v[172:175]// 000000004944: D3D700AC 0EB3F158
	v_mfma_i32_16x16x32_i8 v[172:175], a[90:91], v[250:251], v[172:175]// 00000000494C: D3D700AC 0EB3F55A
	buffer_load_dwordx4 a[220:223], v39, s[92:95], 0 offen offset:3072// 000000004954: E05C1C00 8097DC27
	v_mfma_i32_16x16x32_i8 v[172:175], a[92:93], v[252:253], v[172:175]// 00000000495C: D3D700AC 0EB3F95C
	v_mfma_i32_16x16x32_i8 v[172:175], a[94:95], v[254:255], v[172:175]// 000000004964: D3D700AC 0EB3FD5E
	s_waitcnt vmcnt(36)                                        // 00000000496C: BF8C8F74
	v_mfma_i32_16x16x32_i8 v[176:179], a[96:97], v[224:225], v[176:179]// 000000004970: D3D700B0 0EC3C160
	v_mfma_i32_16x16x32_i8 v[176:179], a[98:99], v[226:227], v[176:179]// 000000004978: D3D700B0 0EC3C562
	buffer_load_dwordx4 a[224:227], v40, s[92:95], 0 offen     // 000000004980: E05C1000 8097E028
	v_mfma_i32_16x16x32_i8 v[176:179], a[100:101], v[228:229], v[176:179]// 000000004988: D3D700B0 0EC3C964
	v_mfma_i32_16x16x32_i8 v[176:179], a[102:103], v[230:231], v[176:179]// 000000004990: D3D700B0 0EC3CD66
	v_mfma_i32_16x16x32_i8 v[176:179], a[104:105], v[232:233], v[176:179]// 000000004998: D3D700B0 0EC3D168
	v_mfma_i32_16x16x32_i8 v[176:179], a[106:107], v[234:235], v[176:179]// 0000000049A0: D3D700B0 0EC3D56A
	buffer_load_dwordx4 a[228:231], v40, s[92:95], 0 offen offset:1024// 0000000049A8: E05C1400 8097E428
	v_mfma_i32_16x16x32_i8 v[176:179], a[108:109], v[236:237], v[176:179]// 0000000049B0: D3D700B0 0EC3D96C
	v_mfma_i32_16x16x32_i8 v[176:179], a[110:111], v[238:239], v[176:179]// 0000000049B8: D3D700B0 0EC3DD6E
	v_mfma_i32_16x16x32_i8 v[180:183], a[96:97], v[240:241], v[180:183]// 0000000049C0: D3D700B4 0ED3E160
	v_mfma_i32_16x16x32_i8 v[180:183], a[98:99], v[242:243], v[180:183]// 0000000049C8: D3D700B4 0ED3E562
	buffer_load_dwordx4 a[232:235], v40, s[92:95], 0 offen offset:2048// 0000000049D0: E05C1800 8097E828
	v_mfma_i32_16x16x32_i8 v[180:183], a[100:101], v[244:245], v[180:183]// 0000000049D8: D3D700B4 0ED3E964
	v_mfma_i32_16x16x32_i8 v[180:183], a[102:103], v[246:247], v[180:183]// 0000000049E0: D3D700B4 0ED3ED66
	v_mfma_i32_16x16x32_i8 v[180:183], a[104:105], v[248:249], v[180:183]// 0000000049E8: D3D700B4 0ED3F168
	v_mfma_i32_16x16x32_i8 v[180:183], a[106:107], v[250:251], v[180:183]// 0000000049F0: D3D700B4 0ED3F56A
	buffer_load_dwordx4 a[236:239], v40, s[92:95], 0 offen offset:3072// 0000000049F8: E05C1C00 8097EC28
	v_mfma_i32_16x16x32_i8 v[180:183], a[108:109], v[252:253], v[180:183]// 000000004A00: D3D700B4 0ED3F96C
	v_mfma_i32_16x16x32_i8 v[180:183], a[110:111], v[254:255], v[180:183]// 000000004A08: D3D700B4 0ED3FD6E
	s_waitcnt vmcnt(36)                                        // 000000004A10: BF8C8F74
	v_mfma_i32_16x16x32_i8 v[184:187], a[112:113], v[224:225], v[184:187]// 000000004A14: D3D700B8 0EE3C170
	v_mfma_i32_16x16x32_i8 v[184:187], a[114:115], v[226:227], v[184:187]// 000000004A1C: D3D700B8 0EE3C572
	buffer_load_dwordx4 a[240:243], v41, s[92:95], 0 offen     // 000000004A24: E05C1000 8097F029
	v_mfma_i32_16x16x32_i8 v[184:187], a[116:117], v[228:229], v[184:187]// 000000004A2C: D3D700B8 0EE3C974
	v_mfma_i32_16x16x32_i8 v[184:187], a[118:119], v[230:231], v[184:187]// 000000004A34: D3D700B8 0EE3CD76
	v_mfma_i32_16x16x32_i8 v[184:187], a[120:121], v[232:233], v[184:187]// 000000004A3C: D3D700B8 0EE3D178
	v_mfma_i32_16x16x32_i8 v[184:187], a[122:123], v[234:235], v[184:187]// 000000004A44: D3D700B8 0EE3D57A
	buffer_load_dwordx4 a[244:247], v41, s[92:95], 0 offen offset:1024// 000000004A4C: E05C1400 8097F429
	v_mfma_i32_16x16x32_i8 v[184:187], a[124:125], v[236:237], v[184:187]// 000000004A54: D3D700B8 0EE3D97C
	v_mfma_i32_16x16x32_i8 v[184:187], a[126:127], v[238:239], v[184:187]// 000000004A5C: D3D700B8 0EE3DD7E
	v_mfma_i32_16x16x32_i8 v[188:191], a[112:113], v[240:241], v[188:191]// 000000004A64: D3D700BC 0EF3E170
	v_mfma_i32_16x16x32_i8 v[188:191], a[114:115], v[242:243], v[188:191]// 000000004A6C: D3D700BC 0EF3E572
	buffer_load_dwordx4 a[248:251], v41, s[92:95], 0 offen offset:2048// 000000004A74: E05C1800 8097F829
	v_mfma_i32_16x16x32_i8 v[188:191], a[116:117], v[244:245], v[188:191]// 000000004A7C: D3D700BC 0EF3E974
	v_mfma_i32_16x16x32_i8 v[188:191], a[118:119], v[246:247], v[188:191]// 000000004A84: D3D700BC 0EF3ED76
	v_mfma_i32_16x16x32_i8 v[188:191], a[120:121], v[248:249], v[188:191]// 000000004A8C: D3D700BC 0EF3F178
	v_mfma_i32_16x16x32_i8 v[188:191], a[122:123], v[250:251], v[188:191]// 000000004A94: D3D700BC 0EF3F57A
	buffer_load_dwordx4 a[252:255], v41, s[92:95], 0 offen offset:3072// 000000004A9C: E05C1C00 8097FC29
	v_mfma_i32_16x16x32_i8 v[188:191], a[124:125], v[252:253], v[188:191]// 000000004AA4: D3D700BC 0EF3F97C
	v_mfma_i32_16x16x32_i8 v[188:191], a[126:127], v[254:255], v[188:191]// 000000004AAC: D3D700BC 0EF3FD7E
	s_waitcnt vmcnt(24)                                        // 000000004AB4: BF8C4F78
	s_barrier                                                  // 000000004AB8: BF8A0000
	v_mfma_i32_16x16x32_i8 v[64:67], a[128:129], v[224:225], v[64:67]// 000000004ABC: D3D70040 0D03C180
	v_mfma_i32_16x16x32_i8 v[64:67], a[130:131], v[226:227], v[64:67]// 000000004AC4: D3D70040 0D03C582
	buffer_load_dwordx4 a[0:3], v34, s[24:27], 0 offen         // 000000004ACC: E05C1000 80860022
	v_mfma_i32_16x16x32_i8 v[64:67], a[132:133], v[228:229], v[64:67]// 000000004AD4: D3D70040 0D03C984
	v_mfma_i32_16x16x32_i8 v[64:67], a[134:135], v[230:231], v[64:67]// 000000004ADC: D3D70040 0D03CD86
	v_mfma_i32_16x16x32_i8 v[64:67], a[136:137], v[232:233], v[64:67]// 000000004AE4: D3D70040 0D03D188
	v_mfma_i32_16x16x32_i8 v[64:67], a[138:139], v[234:235], v[64:67]// 000000004AEC: D3D70040 0D03D58A
	buffer_load_dwordx4 a[4:7], v34, s[24:27], 0 offen offset:1024// 000000004AF4: E05C1400 80860422
	v_mfma_i32_16x16x32_i8 v[64:67], a[140:141], v[236:237], v[64:67]// 000000004AFC: D3D70040 0D03D98C
	v_mfma_i32_16x16x32_i8 v[64:67], a[142:143], v[238:239], v[64:67]// 000000004B04: D3D70040 0D03DD8E
	v_mfma_i32_16x16x32_i8 v[68:71], a[128:129], v[240:241], v[68:71]// 000000004B0C: D3D70044 0D13E180
	v_mfma_i32_16x16x32_i8 v[68:71], a[130:131], v[242:243], v[68:71]// 000000004B14: D3D70044 0D13E582
	buffer_load_dwordx4 a[8:11], v34, s[24:27], 0 offen offset:2048// 000000004B1C: E05C1800 80860822
	v_mfma_i32_16x16x32_i8 v[68:71], a[132:133], v[244:245], v[68:71]// 000000004B24: D3D70044 0D13E984
	v_mfma_i32_16x16x32_i8 v[68:71], a[134:135], v[246:247], v[68:71]// 000000004B2C: D3D70044 0D13ED86
	v_mfma_i32_16x16x32_i8 v[68:71], a[136:137], v[248:249], v[68:71]// 000000004B34: D3D70044 0D13F188
	v_mfma_i32_16x16x32_i8 v[68:71], a[138:139], v[250:251], v[68:71]// 000000004B3C: D3D70044 0D13F58A
	buffer_load_dwordx4 a[12:15], v34, s[24:27], 0 offen offset:3072// 000000004B44: E05C1C00 80860C22
	v_mfma_i32_16x16x32_i8 v[68:71], a[140:141], v[252:253], v[68:71]// 000000004B4C: D3D70044 0D13F98C
	v_mfma_i32_16x16x32_i8 v[68:71], a[142:143], v[254:255], v[68:71]// 000000004B54: D3D70044 0D13FD8E
	v_mfma_i32_16x16x32_i8 v[72:75], a[144:145], v[224:225], v[72:75]// 000000004B5C: D3D70048 0D23C190
	v_mfma_i32_16x16x32_i8 v[72:75], a[146:147], v[226:227], v[72:75]// 000000004B64: D3D70048 0D23C592
	buffer_load_dwordx4 a[16:19], v35, s[24:27], 0 offen       // 000000004B6C: E05C1000 80861023
	v_mfma_i32_16x16x32_i8 v[72:75], a[148:149], v[228:229], v[72:75]// 000000004B74: D3D70048 0D23C994
	v_mfma_i32_16x16x32_i8 v[72:75], a[150:151], v[230:231], v[72:75]// 000000004B7C: D3D70048 0D23CD96
	v_mfma_i32_16x16x32_i8 v[72:75], a[152:153], v[232:233], v[72:75]// 000000004B84: D3D70048 0D23D198
	v_mfma_i32_16x16x32_i8 v[72:75], a[154:155], v[234:235], v[72:75]// 000000004B8C: D3D70048 0D23D59A
	buffer_load_dwordx4 a[20:23], v35, s[24:27], 0 offen offset:1024// 000000004B94: E05C1400 80861423
	v_mfma_i32_16x16x32_i8 v[72:75], a[156:157], v[236:237], v[72:75]// 000000004B9C: D3D70048 0D23D99C
	v_mfma_i32_16x16x32_i8 v[72:75], a[158:159], v[238:239], v[72:75]// 000000004BA4: D3D70048 0D23DD9E
	v_mfma_i32_16x16x32_i8 v[76:79], a[144:145], v[240:241], v[76:79]// 000000004BAC: D3D7004C 0D33E190
	v_mfma_i32_16x16x32_i8 v[76:79], a[146:147], v[242:243], v[76:79]// 000000004BB4: D3D7004C 0D33E592
	buffer_load_dwordx4 a[24:27], v35, s[24:27], 0 offen offset:2048// 000000004BBC: E05C1800 80861823
	v_mfma_i32_16x16x32_i8 v[76:79], a[148:149], v[244:245], v[76:79]// 000000004BC4: D3D7004C 0D33E994
	v_mfma_i32_16x16x32_i8 v[76:79], a[150:151], v[246:247], v[76:79]// 000000004BCC: D3D7004C 0D33ED96
	v_mfma_i32_16x16x32_i8 v[76:79], a[152:153], v[248:249], v[76:79]// 000000004BD4: D3D7004C 0D33F198
	v_mfma_i32_16x16x32_i8 v[76:79], a[154:155], v[250:251], v[76:79]// 000000004BDC: D3D7004C 0D33F59A
	buffer_load_dwordx4 a[28:31], v35, s[24:27], 0 offen offset:3072// 000000004BE4: E05C1C00 80861C23
	v_mfma_i32_16x16x32_i8 v[76:79], a[156:157], v[252:253], v[76:79]// 000000004BEC: D3D7004C 0D33F99C
	v_mfma_i32_16x16x32_i8 v[76:79], a[158:159], v[254:255], v[76:79]// 000000004BF4: D3D7004C 0D33FD9E
	s_waitcnt vmcnt(28)                                        // 000000004BFC: BF8C4F7C
	v_mfma_i32_16x16x32_i8 v[80:83], a[160:161], v[224:225], v[80:83]// 000000004C00: D3D70050 0D43C1A0
	v_mfma_i32_16x16x32_i8 v[80:83], a[162:163], v[226:227], v[80:83]// 000000004C08: D3D70050 0D43C5A2
	buffer_load_dwordx4 a[32:35], v36, s[24:27], 0 offen       // 000000004C10: E05C1000 80862024
	v_mfma_i32_16x16x32_i8 v[80:83], a[164:165], v[228:229], v[80:83]// 000000004C18: D3D70050 0D43C9A4
	v_mfma_i32_16x16x32_i8 v[80:83], a[166:167], v[230:231], v[80:83]// 000000004C20: D3D70050 0D43CDA6
	ds_read_b128 v[192:195], v2                                // 000000004C28: D9FE0000 C0000002
	v_mfma_i32_16x16x32_i8 v[80:83], a[168:169], v[232:233], v[80:83]// 000000004C30: D3D70050 0D43D1A8
	v_mfma_i32_16x16x32_i8 v[80:83], a[170:171], v[234:235], v[80:83]// 000000004C38: D3D70050 0D43D5AA
	buffer_load_dwordx4 a[36:39], v36, s[24:27], 0 offen offset:1024// 000000004C40: E05C1400 80862424
	v_mfma_i32_16x16x32_i8 v[80:83], a[172:173], v[236:237], v[80:83]// 000000004C48: D3D70050 0D43D9AC
	v_mfma_i32_16x16x32_i8 v[80:83], a[174:175], v[238:239], v[80:83]// 000000004C50: D3D70050 0D43DDAE
	ds_read_b128 v[196:199], v2 offset:64                      // 000000004C58: D9FE0040 C4000002
	v_mfma_i32_16x16x32_i8 v[84:87], a[160:161], v[240:241], v[84:87]// 000000004C60: D3D70054 0D53E1A0
	v_mfma_i32_16x16x32_i8 v[84:87], a[162:163], v[242:243], v[84:87]// 000000004C68: D3D70054 0D53E5A2
	buffer_load_dwordx4 a[40:43], v36, s[24:27], 0 offen offset:2048// 000000004C70: E05C1800 80862824
	v_mfma_i32_16x16x32_i8 v[84:87], a[164:165], v[244:245], v[84:87]// 000000004C78: D3D70054 0D53E9A4
	v_mfma_i32_16x16x32_i8 v[84:87], a[166:167], v[246:247], v[84:87]// 000000004C80: D3D70054 0D53EDA6
	ds_read_b128 v[200:203], v2 offset:128                     // 000000004C88: D9FE0080 C8000002
	v_mfma_i32_16x16x32_i8 v[84:87], a[168:169], v[248:249], v[84:87]// 000000004C90: D3D70054 0D53F1A8
	v_mfma_i32_16x16x32_i8 v[84:87], a[170:171], v[250:251], v[84:87]// 000000004C98: D3D70054 0D53F5AA
	buffer_load_dwordx4 a[44:47], v36, s[24:27], 0 offen offset:3072// 000000004CA0: E05C1C00 80862C24
	v_mfma_i32_16x16x32_i8 v[84:87], a[172:173], v[252:253], v[84:87]// 000000004CA8: D3D70054 0D53F9AC
	v_mfma_i32_16x16x32_i8 v[84:87], a[174:175], v[254:255], v[84:87]// 000000004CB0: D3D70054 0D53FDAE
	ds_read_b128 v[204:207], v2 offset:192                     // 000000004CB8: D9FE00C0 CC000002
	s_waitcnt vmcnt(28)                                        // 000000004CC0: BF8C4F7C
	v_mfma_i32_16x16x32_i8 v[88:91], a[176:177], v[224:225], v[88:91]// 000000004CC4: D3D70058 0D63C1B0
	v_mfma_i32_16x16x32_i8 v[88:91], a[178:179], v[226:227], v[88:91]// 000000004CCC: D3D70058 0D63C5B2
	buffer_load_dwordx4 a[48:51], v37, s[24:27], 0 offen       // 000000004CD4: E05C1000 80863025
	v_mfma_i32_16x16x32_i8 v[88:91], a[180:181], v[228:229], v[88:91]// 000000004CDC: D3D70058 0D63C9B4
	v_mfma_i32_16x16x32_i8 v[88:91], a[182:183], v[230:231], v[88:91]// 000000004CE4: D3D70058 0D63CDB6
	ds_read_b128 v[208:211], v2 offset:1024                    // 000000004CEC: D9FE0400 D0000002
	v_mfma_i32_16x16x32_i8 v[88:91], a[184:185], v[232:233], v[88:91]// 000000004CF4: D3D70058 0D63D1B8
	v_mfma_i32_16x16x32_i8 v[88:91], a[186:187], v[234:235], v[88:91]// 000000004CFC: D3D70058 0D63D5BA
	buffer_load_dwordx4 a[52:55], v37, s[24:27], 0 offen offset:1024// 000000004D04: E05C1400 80863425
	v_mfma_i32_16x16x32_i8 v[88:91], a[188:189], v[236:237], v[88:91]// 000000004D0C: D3D70058 0D63D9BC
	v_mfma_i32_16x16x32_i8 v[88:91], a[190:191], v[238:239], v[88:91]// 000000004D14: D3D70058 0D63DDBE
	ds_read_b128 v[212:215], v2 offset:1088                    // 000000004D1C: D9FE0440 D4000002
	v_mfma_i32_16x16x32_i8 v[92:95], a[176:177], v[240:241], v[92:95]// 000000004D24: D3D7005C 0D73E1B0
	v_mfma_i32_16x16x32_i8 v[92:95], a[178:179], v[242:243], v[92:95]// 000000004D2C: D3D7005C 0D73E5B2
	buffer_load_dwordx4 a[56:59], v37, s[24:27], 0 offen offset:2048// 000000004D34: E05C1800 80863825
	v_mfma_i32_16x16x32_i8 v[92:95], a[180:181], v[244:245], v[92:95]// 000000004D3C: D3D7005C 0D73E9B4
	v_mfma_i32_16x16x32_i8 v[92:95], a[182:183], v[246:247], v[92:95]// 000000004D44: D3D7005C 0D73EDB6
	ds_read_b128 v[216:219], v2 offset:1152                    // 000000004D4C: D9FE0480 D8000002
	v_mfma_i32_16x16x32_i8 v[92:95], a[184:185], v[248:249], v[92:95]// 000000004D54: D3D7005C 0D73F1B8
	v_mfma_i32_16x16x32_i8 v[92:95], a[186:187], v[250:251], v[92:95]// 000000004D5C: D3D7005C 0D73F5BA
	buffer_load_dwordx4 a[60:63], v37, s[24:27], 0 offen offset:3072// 000000004D64: E05C1C00 80863C25
	v_mfma_i32_16x16x32_i8 v[92:95], a[188:189], v[252:253], v[92:95]// 000000004D6C: D3D7005C 0D73F9BC
	v_mfma_i32_16x16x32_i8 v[92:95], a[190:191], v[254:255], v[92:95]// 000000004D74: D3D7005C 0D73FDBE
	ds_read_b128 v[220:223], v2 offset:1216                    // 000000004D7C: D9FE04C0 DC000002
	s_waitcnt vmcnt(28)                                        // 000000004D84: BF8C4F7C
	v_mfma_i32_16x16x32_i8 v[96:99], a[192:193], v[224:225], v[96:99]// 000000004D88: D3D70060 0D83C1C0
	v_mfma_i32_16x16x32_i8 v[96:99], a[194:195], v[226:227], v[96:99]// 000000004D90: D3D70060 0D83C5C2
	buffer_load_dwordx4 a[64:67], v38, s[24:27], 0 offen       // 000000004D98: E05C1000 80864026
	v_mfma_i32_16x16x32_i8 v[96:99], a[196:197], v[228:229], v[96:99]// 000000004DA0: D3D70060 0D83C9C4
	v_mfma_i32_16x16x32_i8 v[96:99], a[198:199], v[230:231], v[96:99]// 000000004DA8: D3D70060 0D83CDC6
	v_mfma_i32_16x16x32_i8 v[96:99], a[200:201], v[232:233], v[96:99]// 000000004DB0: D3D70060 0D83D1C8
	v_mfma_i32_16x16x32_i8 v[96:99], a[202:203], v[234:235], v[96:99]// 000000004DB8: D3D70060 0D83D5CA
	buffer_load_dwordx4 a[68:71], v38, s[24:27], 0 offen offset:1024// 000000004DC0: E05C1400 80864426
	v_mfma_i32_16x16x32_i8 v[96:99], a[204:205], v[236:237], v[96:99]// 000000004DC8: D3D70060 0D83D9CC
	v_mfma_i32_16x16x32_i8 v[96:99], a[206:207], v[238:239], v[96:99]// 000000004DD0: D3D70060 0D83DDCE
	v_mfma_i32_16x16x32_i8 v[100:103], a[192:193], v[240:241], v[100:103]// 000000004DD8: D3D70064 0D93E1C0
	v_mfma_i32_16x16x32_i8 v[100:103], a[194:195], v[242:243], v[100:103]// 000000004DE0: D3D70064 0D93E5C2
	buffer_load_dwordx4 a[72:75], v38, s[24:27], 0 offen offset:2048// 000000004DE8: E05C1800 80864826
	v_mfma_i32_16x16x32_i8 v[100:103], a[196:197], v[244:245], v[100:103]// 000000004DF0: D3D70064 0D93E9C4
	v_mfma_i32_16x16x32_i8 v[100:103], a[198:199], v[246:247], v[100:103]// 000000004DF8: D3D70064 0D93EDC6
	v_mfma_i32_16x16x32_i8 v[100:103], a[200:201], v[248:249], v[100:103]// 000000004E00: D3D70064 0D93F1C8
	v_mfma_i32_16x16x32_i8 v[100:103], a[202:203], v[250:251], v[100:103]// 000000004E08: D3D70064 0D93F5CA
	buffer_load_dwordx4 a[76:79], v38, s[24:27], 0 offen offset:3072// 000000004E10: E05C1C00 80864C26
	v_mfma_i32_16x16x32_i8 v[100:103], a[204:205], v[252:253], v[100:103]// 000000004E18: D3D70064 0D93F9CC
	v_mfma_i32_16x16x32_i8 v[100:103], a[206:207], v[254:255], v[100:103]// 000000004E20: D3D70064 0D93FDCE
	s_waitcnt vmcnt(28)                                        // 000000004E28: BF8C4F7C
	v_mfma_i32_16x16x32_i8 v[104:107], a[208:209], v[224:225], v[104:107]// 000000004E2C: D3D70068 0DA3C1D0
	v_mfma_i32_16x16x32_i8 v[104:107], a[210:211], v[226:227], v[104:107]// 000000004E34: D3D70068 0DA3C5D2
	buffer_load_dwordx4 a[80:83], v39, s[24:27], 0 offen       // 000000004E3C: E05C1000 80865027
	v_mfma_i32_16x16x32_i8 v[104:107], a[212:213], v[228:229], v[104:107]// 000000004E44: D3D70068 0DA3C9D4
	v_mfma_i32_16x16x32_i8 v[104:107], a[214:215], v[230:231], v[104:107]// 000000004E4C: D3D70068 0DA3CDD6
	v_mfma_i32_16x16x32_i8 v[104:107], a[216:217], v[232:233], v[104:107]// 000000004E54: D3D70068 0DA3D1D8
	v_mfma_i32_16x16x32_i8 v[104:107], a[218:219], v[234:235], v[104:107]// 000000004E5C: D3D70068 0DA3D5DA
	buffer_load_dwordx4 a[84:87], v39, s[24:27], 0 offen offset:1024// 000000004E64: E05C1400 80865427
	v_mfma_i32_16x16x32_i8 v[104:107], a[220:221], v[236:237], v[104:107]// 000000004E6C: D3D70068 0DA3D9DC
	v_mfma_i32_16x16x32_i8 v[104:107], a[222:223], v[238:239], v[104:107]// 000000004E74: D3D70068 0DA3DDDE
	v_mfma_i32_16x16x32_i8 v[108:111], a[208:209], v[240:241], v[108:111]// 000000004E7C: D3D7006C 0DB3E1D0
	v_mfma_i32_16x16x32_i8 v[108:111], a[210:211], v[242:243], v[108:111]// 000000004E84: D3D7006C 0DB3E5D2
	buffer_load_dwordx4 a[88:91], v39, s[24:27], 0 offen offset:2048// 000000004E8C: E05C1800 80865827
	v_mfma_i32_16x16x32_i8 v[108:111], a[212:213], v[244:245], v[108:111]// 000000004E94: D3D7006C 0DB3E9D4
	v_mfma_i32_16x16x32_i8 v[108:111], a[214:215], v[246:247], v[108:111]// 000000004E9C: D3D7006C 0DB3EDD6
	v_mfma_i32_16x16x32_i8 v[108:111], a[216:217], v[248:249], v[108:111]// 000000004EA4: D3D7006C 0DB3F1D8
	v_mfma_i32_16x16x32_i8 v[108:111], a[218:219], v[250:251], v[108:111]// 000000004EAC: D3D7006C 0DB3F5DA
	buffer_load_dwordx4 a[92:95], v39, s[24:27], 0 offen offset:3072// 000000004EB4: E05C1C00 80865C27
	v_mfma_i32_16x16x32_i8 v[108:111], a[220:221], v[252:253], v[108:111]// 000000004EBC: D3D7006C 0DB3F9DC
	v_mfma_i32_16x16x32_i8 v[108:111], a[222:223], v[254:255], v[108:111]// 000000004EC4: D3D7006C 0DB3FDDE
	s_waitcnt vmcnt(28)                                        // 000000004ECC: BF8C4F7C
	v_mfma_i32_16x16x32_i8 v[112:115], a[224:225], v[224:225], v[112:115]// 000000004ED0: D3D70070 0DC3C1E0
	v_mfma_i32_16x16x32_i8 v[112:115], a[226:227], v[226:227], v[112:115]// 000000004ED8: D3D70070 0DC3C5E2
	buffer_load_dwordx4 a[96:99], v40, s[24:27], 0 offen       // 000000004EE0: E05C1000 80866028
	v_mfma_i32_16x16x32_i8 v[112:115], a[228:229], v[228:229], v[112:115]// 000000004EE8: D3D70070 0DC3C9E4
	v_mfma_i32_16x16x32_i8 v[112:115], a[230:231], v[230:231], v[112:115]// 000000004EF0: D3D70070 0DC3CDE6
	v_mfma_i32_16x16x32_i8 v[112:115], a[232:233], v[232:233], v[112:115]// 000000004EF8: D3D70070 0DC3D1E8
	v_mfma_i32_16x16x32_i8 v[112:115], a[234:235], v[234:235], v[112:115]// 000000004F00: D3D70070 0DC3D5EA
	buffer_load_dwordx4 a[100:103], v40, s[24:27], 0 offen offset:1024// 000000004F08: E05C1400 80866428
	v_mfma_i32_16x16x32_i8 v[112:115], a[236:237], v[236:237], v[112:115]// 000000004F10: D3D70070 0DC3D9EC
	v_mfma_i32_16x16x32_i8 v[112:115], a[238:239], v[238:239], v[112:115]// 000000004F18: D3D70070 0DC3DDEE
	v_mfma_i32_16x16x32_i8 v[116:119], a[224:225], v[240:241], v[116:119]// 000000004F20: D3D70074 0DD3E1E0
	v_mfma_i32_16x16x32_i8 v[116:119], a[226:227], v[242:243], v[116:119]// 000000004F28: D3D70074 0DD3E5E2
	buffer_load_dwordx4 a[104:107], v40, s[24:27], 0 offen offset:2048// 000000004F30: E05C1800 80866828
	v_mfma_i32_16x16x32_i8 v[116:119], a[228:229], v[244:245], v[116:119]// 000000004F38: D3D70074 0DD3E9E4
	v_mfma_i32_16x16x32_i8 v[116:119], a[230:231], v[246:247], v[116:119]// 000000004F40: D3D70074 0DD3EDE6
	v_mfma_i32_16x16x32_i8 v[116:119], a[232:233], v[248:249], v[116:119]// 000000004F48: D3D70074 0DD3F1E8
	v_mfma_i32_16x16x32_i8 v[116:119], a[234:235], v[250:251], v[116:119]// 000000004F50: D3D70074 0DD3F5EA
	buffer_load_dwordx4 a[108:111], v40, s[24:27], 0 offen offset:3072// 000000004F58: E05C1C00 80866C28
	v_mfma_i32_16x16x32_i8 v[116:119], a[236:237], v[252:253], v[116:119]// 000000004F60: D3D70074 0DD3F9EC
	v_mfma_i32_16x16x32_i8 v[116:119], a[238:239], v[254:255], v[116:119]// 000000004F68: D3D70074 0DD3FDEE
	s_waitcnt vmcnt(28)                                        // 000000004F70: BF8C4F7C
	v_mfma_i32_16x16x32_i8 v[120:123], a[240:241], v[224:225], v[120:123]// 000000004F74: D3D70078 0DE3C1F0
	v_mfma_i32_16x16x32_i8 v[120:123], a[242:243], v[226:227], v[120:123]// 000000004F7C: D3D70078 0DE3C5F2
	buffer_load_dwordx4 a[112:115], v41, s[24:27], 0 offen     // 000000004F84: E05C1000 80867029
	v_mfma_i32_16x16x32_i8 v[120:123], a[244:245], v[228:229], v[120:123]// 000000004F8C: D3D70078 0DE3C9F4
	v_mfma_i32_16x16x32_i8 v[120:123], a[246:247], v[230:231], v[120:123]// 000000004F94: D3D70078 0DE3CDF6
	v_mfma_i32_16x16x32_i8 v[120:123], a[248:249], v[232:233], v[120:123]// 000000004F9C: D3D70078 0DE3D1F8
	v_mfma_i32_16x16x32_i8 v[120:123], a[250:251], v[234:235], v[120:123]// 000000004FA4: D3D70078 0DE3D5FA
	buffer_load_dwordx4 a[116:119], v41, s[24:27], 0 offen offset:1024// 000000004FAC: E05C1400 80867429
	v_mfma_i32_16x16x32_i8 v[120:123], a[252:253], v[236:237], v[120:123]// 000000004FB4: D3D70078 0DE3D9FC
	v_mfma_i32_16x16x32_i8 v[120:123], a[254:255], v[238:239], v[120:123]// 000000004FBC: D3D70078 0DE3DDFE
	v_mfma_i32_16x16x32_i8 v[124:127], a[240:241], v[240:241], v[124:127]// 000000004FC4: D3D7007C 0DF3E1F0
	v_mfma_i32_16x16x32_i8 v[124:127], a[242:243], v[242:243], v[124:127]// 000000004FCC: D3D7007C 0DF3E5F2
	buffer_load_dwordx4 a[120:123], v41, s[24:27], 0 offen offset:2048// 000000004FD4: E05C1800 80867829
	v_mfma_i32_16x16x32_i8 v[124:127], a[244:245], v[244:245], v[124:127]// 000000004FDC: D3D7007C 0DF3E9F4
	v_mfma_i32_16x16x32_i8 v[124:127], a[246:247], v[246:247], v[124:127]// 000000004FE4: D3D7007C 0DF3EDF6
	v_mfma_i32_16x16x32_i8 v[124:127], a[248:249], v[248:249], v[124:127]// 000000004FEC: D3D7007C 0DF3F1F8
	v_mfma_i32_16x16x32_i8 v[124:127], a[250:251], v[250:251], v[124:127]// 000000004FF4: D3D7007C 0DF3F5FA
	buffer_load_dwordx4 a[124:127], v41, s[24:27], 0 offen offset:3072// 000000004FFC: E05C1C00 80867C29
	v_mfma_i32_16x16x32_i8 v[124:127], a[252:253], v[252:253], v[124:127]// 000000005004: D3D7007C 0DF3F9FC
	v_mfma_i32_16x16x32_i8 v[124:127], a[254:255], v[254:255], v[124:127]// 00000000500C: D3D7007C 0DF3FDFE
	s_add_u32 s60, 0x200, s80                                  // 000000005014: 803C50FF 00000200
	s_cmp_lt_u32 s60, s81                                      // 00000000501C: BF0A513C
	s_cselect_b32 s57, s57, 0                                  // 000000005020: 85398039
	s_add_u32 s60, 0x200, s80                                  // 000000005024: 803C50FF 00000200
	s_cmp_lt_u32 s60, s81                                      // 00000000502C: BF0A513C
	s_cselect_b32 s58, s58, 0                                  // 000000005030: 853A803A
	s_add_u32 s20, s57, s20                                    // 000000005034: 80141439
	s_addc_u32 s21, 0, s21                                     // 000000005038: 82151580
	s_add_u32 s24, s58, s24                                    // 00000000503C: 8018183A
	s_addc_u32 s25, 0, s25                                     // 000000005040: 82191980
	s_add_u32 s92, s90, s92                                    // 000000005044: 805C5C5A
	s_addc_u32 s93, 0, s93                                     // 000000005048: 825D5D80
	s_addk_i32 s80, 0x100                                      // 00000000504C: B7500100
	s_cmp_lt_i32 s80, s81                                      // 000000005050: BF045150
	s_cbranch_scc0 label_0897                                  // 000000005054: BF840001
	s_branch label_02F6                                        // 000000005058: BF82FA5F

000000000000505c <label_0897>:
	s_mov_b32 s36, -1                                          // 00000000505C: BEA400C1
	s_mov_b32 s37, -1                                          // 000000005060: BEA500C1
	s_mov_b64 s[60:61], 0                                      // 000000005064: BEBC0180
	s_cmp_lt_u32 s82, s66                                      // 000000005068: BF0A4252
	s_cselect_b64 s[20:21], s[36:37], s[60:61]                 // 00000000506C: 85943C24
	s_cmp_lt_u32 s83, s66                                      // 000000005070: BF0A4253
	s_cselect_b64 s[22:23], s[36:37], s[60:61]                 // 000000005074: 85963C24
	s_cmp_lt_u32 s84, s66                                      // 000000005078: BF0A4254
	s_cselect_b64 s[24:25], s[36:37], s[60:61]                 // 00000000507C: 85983C24
	s_cmp_lt_u32 s85, s66                                      // 000000005080: BF0A4255
	s_cselect_b64 s[26:27], s[36:37], s[60:61]                 // 000000005084: 859A3C24
	s_cmp_lt_u32 s86, s66                                      // 000000005088: BF0A4256
	s_cselect_b64 s[28:29], s[36:37], s[60:61]                 // 00000000508C: 859C3C24
	s_cmp_lt_u32 s87, s66                                      // 000000005090: BF0A4257
	s_cselect_b64 s[30:31], s[36:37], s[60:61]                 // 000000005094: 859E3C24
	s_cmp_lt_u32 s88, s66                                      // 000000005098: BF0A4258
	s_cselect_b64 s[32:33], s[36:37], s[60:61]                 // 00000000509C: 85A03C24
	s_cmp_lt_u32 s89, s66                                      // 0000000050A0: BF0A4259
	s_cselect_b64 s[34:35], s[36:37], s[60:61]                 // 0000000050A4: 85A23C24
	v_cvt_f32_i32_e32 v128, v128                               // 0000000050A8: 7F000B80
	v_cvt_f32_i32_e32 v129, v129                               // 0000000050AC: 7F020B81
	v_cvt_f32_i32_e32 v130, v130                               // 0000000050B0: 7F040B82
	v_cvt_f32_i32_e32 v131, v131                               // 0000000050B4: 7F060B83
	v_mul_f32_e32 v128, v14, v128                              // 0000000050B8: 0B01010E
	v_mul_f32_e32 v129, v14, v129                              // 0000000050BC: 0B03030E
	v_mul_f32_e32 v130, v14, v130                              // 0000000050C0: 0B05050E
	v_mul_f32_e32 v131, v14, v131                              // 0000000050C4: 0B07070E
	v_mul_f32_dpp v128, v16, v128 row_newbcast:0 row_mask:0xf bank_mask:0xf// 0000000050C8: 0B0100FA FF015010
	v_mul_f32_dpp v129, v16, v129 row_newbcast:1 row_mask:0xf bank_mask:0xf// 0000000050D0: 0B0302FA FF015110
	v_mul_f32_dpp v130, v16, v130 row_newbcast:2 row_mask:0xf bank_mask:0xf// 0000000050D8: 0B0504FA FF015210
	v_mul_f32_dpp v131, v16, v131 row_newbcast:3 row_mask:0xf bank_mask:0xf// 0000000050E0: 0B0706FA FF015310
	v_cvt_f32_i32_e32 v132, v132                               // 0000000050E8: 7F080B84
	v_cvt_f32_i32_e32 v133, v133                               // 0000000050EC: 7F0A0B85
	v_cvt_f32_i32_e32 v134, v134                               // 0000000050F0: 7F0C0B86
	v_cvt_f32_i32_e32 v135, v135                               // 0000000050F4: 7F0E0B87
	v_mul_f32_e32 v132, v15, v132                              // 0000000050F8: 0B09090F
	v_mul_f32_e32 v133, v15, v133                              // 0000000050FC: 0B0B0B0F
	v_mul_f32_e32 v134, v15, v134                              // 000000005100: 0B0D0D0F
	v_mul_f32_e32 v135, v15, v135                              // 000000005104: 0B0F0F0F
	v_mul_f32_dpp v132, v16, v132 row_newbcast:0 row_mask:0xf bank_mask:0xf// 000000005108: 0B0908FA FF015010
	v_mul_f32_dpp v133, v16, v133 row_newbcast:1 row_mask:0xf bank_mask:0xf// 000000005110: 0B0B0AFA FF015110
	v_mul_f32_dpp v134, v16, v134 row_newbcast:2 row_mask:0xf bank_mask:0xf// 000000005118: 0B0D0CFA FF015210
	v_mul_f32_dpp v135, v16, v135 row_newbcast:3 row_mask:0xf bank_mask:0xf// 000000005120: 0B0F0EFA FF015310
	v_cvt_f32_i32_e32 v136, v136                               // 000000005128: 7F100B88
	v_cvt_f32_i32_e32 v137, v137                               // 00000000512C: 7F120B89
	v_cvt_f32_i32_e32 v138, v138                               // 000000005130: 7F140B8A
	v_cvt_f32_i32_e32 v139, v139                               // 000000005134: 7F160B8B
	v_mul_f32_e32 v136, v14, v136                              // 000000005138: 0B11110E
	v_mul_f32_e32 v137, v14, v137                              // 00000000513C: 0B13130E
	v_mul_f32_e32 v138, v14, v138                              // 000000005140: 0B15150E
	v_mul_f32_e32 v139, v14, v139                              // 000000005144: 0B17170E
	v_mul_f32_dpp v136, v16, v136 row_newbcast:4 row_mask:0xf bank_mask:0xf// 000000005148: 0B1110FA FF015410
	v_mul_f32_dpp v137, v16, v137 row_newbcast:5 row_mask:0xf bank_mask:0xf// 000000005150: 0B1312FA FF015510
	v_mul_f32_dpp v138, v16, v138 row_newbcast:6 row_mask:0xf bank_mask:0xf// 000000005158: 0B1514FA FF015610
	v_mul_f32_dpp v139, v16, v139 row_newbcast:7 row_mask:0xf bank_mask:0xf// 000000005160: 0B1716FA FF015710
	v_cvt_f32_i32_e32 v140, v140                               // 000000005168: 7F180B8C
	v_cvt_f32_i32_e32 v141, v141                               // 00000000516C: 7F1A0B8D
	v_cvt_f32_i32_e32 v142, v142                               // 000000005170: 7F1C0B8E
	v_cvt_f32_i32_e32 v143, v143                               // 000000005174: 7F1E0B8F
	v_mul_f32_e32 v140, v15, v140                              // 000000005178: 0B19190F
	v_mul_f32_e32 v141, v15, v141                              // 00000000517C: 0B1B1B0F
	v_mul_f32_e32 v142, v15, v142                              // 000000005180: 0B1D1D0F
	v_mul_f32_e32 v143, v15, v143                              // 000000005184: 0B1F1F0F
	v_mul_f32_dpp v140, v16, v140 row_newbcast:4 row_mask:0xf bank_mask:0xf// 000000005188: 0B1918FA FF015410
	v_mul_f32_dpp v141, v16, v141 row_newbcast:5 row_mask:0xf bank_mask:0xf// 000000005190: 0B1B1AFA FF015510
	v_mul_f32_dpp v142, v16, v142 row_newbcast:6 row_mask:0xf bank_mask:0xf// 000000005198: 0B1D1CFA FF015610
	v_mul_f32_dpp v143, v16, v143 row_newbcast:7 row_mask:0xf bank_mask:0xf// 0000000051A0: 0B1F1EFA FF015710
	v_cvt_f32_i32_e32 v144, v144                               // 0000000051A8: 7F200B90
	v_cvt_f32_i32_e32 v145, v145                               // 0000000051AC: 7F220B91
	v_cvt_f32_i32_e32 v146, v146                               // 0000000051B0: 7F240B92
	v_cvt_f32_i32_e32 v147, v147                               // 0000000051B4: 7F260B93
	v_mul_f32_e32 v144, v14, v144                              // 0000000051B8: 0B21210E
	v_mul_f32_e32 v145, v14, v145                              // 0000000051BC: 0B23230E
	v_mul_f32_e32 v146, v14, v146                              // 0000000051C0: 0B25250E
	v_mul_f32_e32 v147, v14, v147                              // 0000000051C4: 0B27270E
	v_mul_f32_dpp v144, v16, v144 row_newbcast:8 row_mask:0xf bank_mask:0xf// 0000000051C8: 0B2120FA FF015810
	v_mul_f32_dpp v145, v16, v145 row_newbcast:9 row_mask:0xf bank_mask:0xf// 0000000051D0: 0B2322FA FF015910
	v_mul_f32_dpp v146, v16, v146 row_newbcast:10 row_mask:0xf bank_mask:0xf// 0000000051D8: 0B2524FA FF015A10
	v_mul_f32_dpp v147, v16, v147 row_newbcast:11 row_mask:0xf bank_mask:0xf// 0000000051E0: 0B2726FA FF015B10
	v_cvt_f32_i32_e32 v148, v148                               // 0000000051E8: 7F280B94
	v_cvt_f32_i32_e32 v149, v149                               // 0000000051EC: 7F2A0B95
	v_cvt_f32_i32_e32 v150, v150                               // 0000000051F0: 7F2C0B96
	v_cvt_f32_i32_e32 v151, v151                               // 0000000051F4: 7F2E0B97
	v_mul_f32_e32 v148, v15, v148                              // 0000000051F8: 0B29290F
	v_mul_f32_e32 v149, v15, v149                              // 0000000051FC: 0B2B2B0F
	v_mul_f32_e32 v150, v15, v150                              // 000000005200: 0B2D2D0F
	v_mul_f32_e32 v151, v15, v151                              // 000000005204: 0B2F2F0F
	v_mul_f32_dpp v148, v16, v148 row_newbcast:8 row_mask:0xf bank_mask:0xf// 000000005208: 0B2928FA FF015810
	v_mul_f32_dpp v149, v16, v149 row_newbcast:9 row_mask:0xf bank_mask:0xf// 000000005210: 0B2B2AFA FF015910
	v_mul_f32_dpp v150, v16, v150 row_newbcast:10 row_mask:0xf bank_mask:0xf// 000000005218: 0B2D2CFA FF015A10
	v_mul_f32_dpp v151, v16, v151 row_newbcast:11 row_mask:0xf bank_mask:0xf// 000000005220: 0B2F2EFA FF015B10
	v_cvt_f32_i32_e32 v152, v152                               // 000000005228: 7F300B98
	v_cvt_f32_i32_e32 v153, v153                               // 00000000522C: 7F320B99
	v_cvt_f32_i32_e32 v154, v154                               // 000000005230: 7F340B9A
	v_cvt_f32_i32_e32 v155, v155                               // 000000005234: 7F360B9B
	v_mul_f32_e32 v152, v14, v152                              // 000000005238: 0B31310E
	v_mul_f32_e32 v153, v14, v153                              // 00000000523C: 0B33330E
	v_mul_f32_e32 v154, v14, v154                              // 000000005240: 0B35350E
	v_mul_f32_e32 v155, v14, v155                              // 000000005244: 0B37370E
	v_mul_f32_dpp v152, v16, v152 row_newbcast:12 row_mask:0xf bank_mask:0xf// 000000005248: 0B3130FA FF015C10
	v_mul_f32_dpp v153, v16, v153 row_newbcast:13 row_mask:0xf bank_mask:0xf// 000000005250: 0B3332FA FF015D10
	v_mul_f32_dpp v154, v16, v154 row_newbcast:14 row_mask:0xf bank_mask:0xf// 000000005258: 0B3534FA FF015E10
	v_mul_f32_dpp v155, v16, v155 row_newbcast:15 row_mask:0xf bank_mask:0xf// 000000005260: 0B3736FA FF015F10
	v_cvt_f32_i32_e32 v156, v156                               // 000000005268: 7F380B9C
	v_cvt_f32_i32_e32 v157, v157                               // 00000000526C: 7F3A0B9D
	v_cvt_f32_i32_e32 v158, v158                               // 000000005270: 7F3C0B9E
	v_cvt_f32_i32_e32 v159, v159                               // 000000005274: 7F3E0B9F
	v_mul_f32_e32 v156, v15, v156                              // 000000005278: 0B39390F
	v_mul_f32_e32 v157, v15, v157                              // 00000000527C: 0B3B3B0F
	v_mul_f32_e32 v158, v15, v158                              // 000000005280: 0B3D3D0F
	v_mul_f32_e32 v159, v15, v159                              // 000000005284: 0B3F3F0F
	v_mul_f32_dpp v156, v16, v156 row_newbcast:12 row_mask:0xf bank_mask:0xf// 000000005288: 0B3938FA FF015C10
	v_mul_f32_dpp v157, v16, v157 row_newbcast:13 row_mask:0xf bank_mask:0xf// 000000005290: 0B3B3AFA FF015D10
	v_mul_f32_dpp v158, v16, v158 row_newbcast:14 row_mask:0xf bank_mask:0xf// 000000005298: 0B3D3CFA FF015E10
	v_mul_f32_dpp v159, v16, v159 row_newbcast:15 row_mask:0xf bank_mask:0xf// 0000000052A0: 0B3F3EFA FF015F10
	v_cvt_f32_i32_e32 v160, v160                               // 0000000052A8: 7F400BA0
	v_cvt_f32_i32_e32 v161, v161                               // 0000000052AC: 7F420BA1
	v_cvt_f32_i32_e32 v162, v162                               // 0000000052B0: 7F440BA2
	v_cvt_f32_i32_e32 v163, v163                               // 0000000052B4: 7F460BA3
	v_mul_f32_e32 v160, v14, v160                              // 0000000052B8: 0B41410E
	v_mul_f32_e32 v161, v14, v161                              // 0000000052BC: 0B43430E
	v_mul_f32_e32 v162, v14, v162                              // 0000000052C0: 0B45450E
	v_mul_f32_e32 v163, v14, v163                              // 0000000052C4: 0B47470E
	v_mul_f32_dpp v160, v17, v160 row_newbcast:0 row_mask:0xf bank_mask:0xf// 0000000052C8: 0B4140FA FF015011
	v_mul_f32_dpp v161, v17, v161 row_newbcast:1 row_mask:0xf bank_mask:0xf// 0000000052D0: 0B4342FA FF015111
	v_mul_f32_dpp v162, v17, v162 row_newbcast:2 row_mask:0xf bank_mask:0xf// 0000000052D8: 0B4544FA FF015211
	v_mul_f32_dpp v163, v17, v163 row_newbcast:3 row_mask:0xf bank_mask:0xf// 0000000052E0: 0B4746FA FF015311
	v_cvt_f32_i32_e32 v164, v164                               // 0000000052E8: 7F480BA4
	v_cvt_f32_i32_e32 v165, v165                               // 0000000052EC: 7F4A0BA5
	v_cvt_f32_i32_e32 v166, v166                               // 0000000052F0: 7F4C0BA6
	v_cvt_f32_i32_e32 v167, v167                               // 0000000052F4: 7F4E0BA7
	v_mul_f32_e32 v164, v15, v164                              // 0000000052F8: 0B49490F
	v_mul_f32_e32 v165, v15, v165                              // 0000000052FC: 0B4B4B0F
	v_mul_f32_e32 v166, v15, v166                              // 000000005300: 0B4D4D0F
	v_mul_f32_e32 v167, v15, v167                              // 000000005304: 0B4F4F0F
	v_mul_f32_dpp v164, v17, v164 row_newbcast:0 row_mask:0xf bank_mask:0xf// 000000005308: 0B4948FA FF015011
	v_mul_f32_dpp v165, v17, v165 row_newbcast:1 row_mask:0xf bank_mask:0xf// 000000005310: 0B4B4AFA FF015111
	v_mul_f32_dpp v166, v17, v166 row_newbcast:2 row_mask:0xf bank_mask:0xf// 000000005318: 0B4D4CFA FF015211
	v_mul_f32_dpp v167, v17, v167 row_newbcast:3 row_mask:0xf bank_mask:0xf// 000000005320: 0B4F4EFA FF015311
	v_cvt_f32_i32_e32 v168, v168                               // 000000005328: 7F500BA8
	v_cvt_f32_i32_e32 v169, v169                               // 00000000532C: 7F520BA9
	v_cvt_f32_i32_e32 v170, v170                               // 000000005330: 7F540BAA
	v_cvt_f32_i32_e32 v171, v171                               // 000000005334: 7F560BAB
	v_mul_f32_e32 v168, v14, v168                              // 000000005338: 0B51510E
	v_mul_f32_e32 v169, v14, v169                              // 00000000533C: 0B53530E
	v_mul_f32_e32 v170, v14, v170                              // 000000005340: 0B55550E
	v_mul_f32_e32 v171, v14, v171                              // 000000005344: 0B57570E
	v_mul_f32_dpp v168, v17, v168 row_newbcast:4 row_mask:0xf bank_mask:0xf// 000000005348: 0B5150FA FF015411
	v_mul_f32_dpp v169, v17, v169 row_newbcast:5 row_mask:0xf bank_mask:0xf// 000000005350: 0B5352FA FF015511
	v_mul_f32_dpp v170, v17, v170 row_newbcast:6 row_mask:0xf bank_mask:0xf// 000000005358: 0B5554FA FF015611
	v_mul_f32_dpp v171, v17, v171 row_newbcast:7 row_mask:0xf bank_mask:0xf// 000000005360: 0B5756FA FF015711
	v_cvt_f32_i32_e32 v172, v172                               // 000000005368: 7F580BAC
	v_cvt_f32_i32_e32 v173, v173                               // 00000000536C: 7F5A0BAD
	v_cvt_f32_i32_e32 v174, v174                               // 000000005370: 7F5C0BAE
	v_cvt_f32_i32_e32 v175, v175                               // 000000005374: 7F5E0BAF
	v_mul_f32_e32 v172, v15, v172                              // 000000005378: 0B59590F
	v_mul_f32_e32 v173, v15, v173                              // 00000000537C: 0B5B5B0F
	v_mul_f32_e32 v174, v15, v174                              // 000000005380: 0B5D5D0F
	v_mul_f32_e32 v175, v15, v175                              // 000000005384: 0B5F5F0F
	v_mul_f32_dpp v172, v17, v172 row_newbcast:4 row_mask:0xf bank_mask:0xf// 000000005388: 0B5958FA FF015411
	v_mul_f32_dpp v173, v17, v173 row_newbcast:5 row_mask:0xf bank_mask:0xf// 000000005390: 0B5B5AFA FF015511
	v_mul_f32_dpp v174, v17, v174 row_newbcast:6 row_mask:0xf bank_mask:0xf// 000000005398: 0B5D5CFA FF015611
	v_mul_f32_dpp v175, v17, v175 row_newbcast:7 row_mask:0xf bank_mask:0xf// 0000000053A0: 0B5F5EFA FF015711
	v_cvt_f32_i32_e32 v176, v176                               // 0000000053A8: 7F600BB0
	v_cvt_f32_i32_e32 v177, v177                               // 0000000053AC: 7F620BB1
	v_cvt_f32_i32_e32 v178, v178                               // 0000000053B0: 7F640BB2
	v_cvt_f32_i32_e32 v179, v179                               // 0000000053B4: 7F660BB3
	v_mul_f32_e32 v176, v14, v176                              // 0000000053B8: 0B61610E
	v_mul_f32_e32 v177, v14, v177                              // 0000000053BC: 0B63630E
	v_mul_f32_e32 v178, v14, v178                              // 0000000053C0: 0B65650E
	v_mul_f32_e32 v179, v14, v179                              // 0000000053C4: 0B67670E
	v_mul_f32_dpp v176, v17, v176 row_newbcast:8 row_mask:0xf bank_mask:0xf// 0000000053C8: 0B6160FA FF015811
	v_mul_f32_dpp v177, v17, v177 row_newbcast:9 row_mask:0xf bank_mask:0xf// 0000000053D0: 0B6362FA FF015911
	v_mul_f32_dpp v178, v17, v178 row_newbcast:10 row_mask:0xf bank_mask:0xf// 0000000053D8: 0B6564FA FF015A11
	v_mul_f32_dpp v179, v17, v179 row_newbcast:11 row_mask:0xf bank_mask:0xf// 0000000053E0: 0B6766FA FF015B11
	v_cvt_f32_i32_e32 v180, v180                               // 0000000053E8: 7F680BB4
	v_cvt_f32_i32_e32 v181, v181                               // 0000000053EC: 7F6A0BB5
	v_cvt_f32_i32_e32 v182, v182                               // 0000000053F0: 7F6C0BB6
	v_cvt_f32_i32_e32 v183, v183                               // 0000000053F4: 7F6E0BB7
	v_mul_f32_e32 v180, v15, v180                              // 0000000053F8: 0B69690F
	v_mul_f32_e32 v181, v15, v181                              // 0000000053FC: 0B6B6B0F
	v_mul_f32_e32 v182, v15, v182                              // 000000005400: 0B6D6D0F
	v_mul_f32_e32 v183, v15, v183                              // 000000005404: 0B6F6F0F
	v_mul_f32_dpp v180, v17, v180 row_newbcast:8 row_mask:0xf bank_mask:0xf// 000000005408: 0B6968FA FF015811
	v_mul_f32_dpp v181, v17, v181 row_newbcast:9 row_mask:0xf bank_mask:0xf// 000000005410: 0B6B6AFA FF015911
	v_mul_f32_dpp v182, v17, v182 row_newbcast:10 row_mask:0xf bank_mask:0xf// 000000005418: 0B6D6CFA FF015A11
	v_mul_f32_dpp v183, v17, v183 row_newbcast:11 row_mask:0xf bank_mask:0xf// 000000005420: 0B6F6EFA FF015B11
	v_cvt_f32_i32_e32 v184, v184                               // 000000005428: 7F700BB8
	v_cvt_f32_i32_e32 v185, v185                               // 00000000542C: 7F720BB9
	v_cvt_f32_i32_e32 v186, v186                               // 000000005430: 7F740BBA
	v_cvt_f32_i32_e32 v187, v187                               // 000000005434: 7F760BBB
	v_mul_f32_e32 v184, v14, v184                              // 000000005438: 0B71710E
	v_mul_f32_e32 v185, v14, v185                              // 00000000543C: 0B73730E
	v_mul_f32_e32 v186, v14, v186                              // 000000005440: 0B75750E
	v_mul_f32_e32 v187, v14, v187                              // 000000005444: 0B77770E
	v_mul_f32_dpp v184, v17, v184 row_newbcast:12 row_mask:0xf bank_mask:0xf// 000000005448: 0B7170FA FF015C11
	v_mul_f32_dpp v185, v17, v185 row_newbcast:13 row_mask:0xf bank_mask:0xf// 000000005450: 0B7372FA FF015D11
	v_mul_f32_dpp v186, v17, v186 row_newbcast:14 row_mask:0xf bank_mask:0xf// 000000005458: 0B7574FA FF015E11
	v_mul_f32_dpp v187, v17, v187 row_newbcast:15 row_mask:0xf bank_mask:0xf// 000000005460: 0B7776FA FF015F11
	v_cvt_f32_i32_e32 v188, v188                               // 000000005468: 7F780BBC
	v_cvt_f32_i32_e32 v189, v189                               // 00000000546C: 7F7A0BBD
	v_cvt_f32_i32_e32 v190, v190                               // 000000005470: 7F7C0BBE
	v_cvt_f32_i32_e32 v191, v191                               // 000000005474: 7F7E0BBF
	v_mul_f32_e32 v188, v15, v188                              // 000000005478: 0B79790F
	v_mul_f32_e32 v189, v15, v189                              // 00000000547C: 0B7B7B0F
	v_mul_f32_e32 v190, v15, v190                              // 000000005480: 0B7D7D0F
	v_mul_f32_e32 v191, v15, v191                              // 000000005484: 0B7F7F0F
	v_mul_f32_dpp v188, v17, v188 row_newbcast:12 row_mask:0xf bank_mask:0xf// 000000005488: 0B7978FA FF015C11
	v_mul_f32_dpp v189, v17, v189 row_newbcast:13 row_mask:0xf bank_mask:0xf// 000000005490: 0B7B7AFA FF015D11
	v_mul_f32_dpp v190, v17, v190 row_newbcast:14 row_mask:0xf bank_mask:0xf// 000000005498: 0B7D7CFA FF015E11
	v_mul_f32_dpp v191, v17, v191 row_newbcast:15 row_mask:0xf bank_mask:0xf// 0000000054A0: 0B7F7EFA FF015F11
	v_cvt_f32_i32_e32 v64, v64                                 // 0000000054A8: 7E800B40
	v_cvt_f32_i32_e32 v65, v65                                 // 0000000054AC: 7E820B41
	v_cvt_f32_i32_e32 v66, v66                                 // 0000000054B0: 7E840B42
	v_cvt_f32_i32_e32 v67, v67                                 // 0000000054B4: 7E860B43
	v_mul_f32_e32 v64, v14, v64                                // 0000000054B8: 0A80810E
	v_mul_f32_e32 v65, v14, v65                                // 0000000054BC: 0A82830E
	v_mul_f32_e32 v66, v14, v66                                // 0000000054C0: 0A84850E
	v_mul_f32_e32 v67, v14, v67                                // 0000000054C4: 0A86870E
	v_mul_f32_dpp v64, v50, v64 row_newbcast:0 row_mask:0xf bank_mask:0xf// 0000000054C8: 0A8080FA FF015032
	v_mul_f32_dpp v65, v50, v65 row_newbcast:1 row_mask:0xf bank_mask:0xf// 0000000054D0: 0A8282FA FF015132
	v_mul_f32_dpp v66, v50, v66 row_newbcast:2 row_mask:0xf bank_mask:0xf// 0000000054D8: 0A8484FA FF015232
	v_mul_f32_dpp v67, v50, v67 row_newbcast:3 row_mask:0xf bank_mask:0xf// 0000000054E0: 0A8686FA FF015332
	v_cvt_f32_i32_e32 v68, v68                                 // 0000000054E8: 7E880B44
	v_cvt_f32_i32_e32 v69, v69                                 // 0000000054EC: 7E8A0B45
	v_cvt_f32_i32_e32 v70, v70                                 // 0000000054F0: 7E8C0B46
	v_cvt_f32_i32_e32 v71, v71                                 // 0000000054F4: 7E8E0B47
	v_mul_f32_e32 v68, v15, v68                                // 0000000054F8: 0A88890F
	v_mul_f32_e32 v69, v15, v69                                // 0000000054FC: 0A8A8B0F
	v_mul_f32_e32 v70, v15, v70                                // 000000005500: 0A8C8D0F
	v_mul_f32_e32 v71, v15, v71                                // 000000005504: 0A8E8F0F
	v_mul_f32_dpp v68, v50, v68 row_newbcast:0 row_mask:0xf bank_mask:0xf// 000000005508: 0A8888FA FF015032
	v_mul_f32_dpp v69, v50, v69 row_newbcast:1 row_mask:0xf bank_mask:0xf// 000000005510: 0A8A8AFA FF015132
	v_mul_f32_dpp v70, v50, v70 row_newbcast:2 row_mask:0xf bank_mask:0xf// 000000005518: 0A8C8CFA FF015232
	v_mul_f32_dpp v71, v50, v71 row_newbcast:3 row_mask:0xf bank_mask:0xf// 000000005520: 0A8E8EFA FF015332
	v_cvt_f32_i32_e32 v72, v72                                 // 000000005528: 7E900B48
	v_cvt_f32_i32_e32 v73, v73                                 // 00000000552C: 7E920B49
	v_cvt_f32_i32_e32 v74, v74                                 // 000000005530: 7E940B4A
	v_cvt_f32_i32_e32 v75, v75                                 // 000000005534: 7E960B4B
	v_mul_f32_e32 v72, v14, v72                                // 000000005538: 0A90910E
	v_mul_f32_e32 v73, v14, v73                                // 00000000553C: 0A92930E
	v_mul_f32_e32 v74, v14, v74                                // 000000005540: 0A94950E
	v_mul_f32_e32 v75, v14, v75                                // 000000005544: 0A96970E
	v_mul_f32_dpp v72, v50, v72 row_newbcast:4 row_mask:0xf bank_mask:0xf// 000000005548: 0A9090FA FF015432
	v_mul_f32_dpp v73, v50, v73 row_newbcast:5 row_mask:0xf bank_mask:0xf// 000000005550: 0A9292FA FF015532
	v_mul_f32_dpp v74, v50, v74 row_newbcast:6 row_mask:0xf bank_mask:0xf// 000000005558: 0A9494FA FF015632
	v_mul_f32_dpp v75, v50, v75 row_newbcast:7 row_mask:0xf bank_mask:0xf// 000000005560: 0A9696FA FF015732
	v_cvt_f32_i32_e32 v76, v76                                 // 000000005568: 7E980B4C
	v_cvt_f32_i32_e32 v77, v77                                 // 00000000556C: 7E9A0B4D
	v_cvt_f32_i32_e32 v78, v78                                 // 000000005570: 7E9C0B4E
	v_cvt_f32_i32_e32 v79, v79                                 // 000000005574: 7E9E0B4F
	v_mul_f32_e32 v76, v15, v76                                // 000000005578: 0A98990F
	v_mul_f32_e32 v77, v15, v77                                // 00000000557C: 0A9A9B0F
	v_mul_f32_e32 v78, v15, v78                                // 000000005580: 0A9C9D0F
	v_mul_f32_e32 v79, v15, v79                                // 000000005584: 0A9E9F0F
	v_mul_f32_dpp v76, v50, v76 row_newbcast:4 row_mask:0xf bank_mask:0xf// 000000005588: 0A9898FA FF015432
	v_mul_f32_dpp v77, v50, v77 row_newbcast:5 row_mask:0xf bank_mask:0xf// 000000005590: 0A9A9AFA FF015532
	v_mul_f32_dpp v78, v50, v78 row_newbcast:6 row_mask:0xf bank_mask:0xf// 000000005598: 0A9C9CFA FF015632
	v_mul_f32_dpp v79, v50, v79 row_newbcast:7 row_mask:0xf bank_mask:0xf// 0000000055A0: 0A9E9EFA FF015732
	v_cvt_f32_i32_e32 v80, v80                                 // 0000000055A8: 7EA00B50
	v_cvt_f32_i32_e32 v81, v81                                 // 0000000055AC: 7EA20B51
	v_cvt_f32_i32_e32 v82, v82                                 // 0000000055B0: 7EA40B52
	v_cvt_f32_i32_e32 v83, v83                                 // 0000000055B4: 7EA60B53
	v_mul_f32_e32 v80, v14, v80                                // 0000000055B8: 0AA0A10E
	v_mul_f32_e32 v81, v14, v81                                // 0000000055BC: 0AA2A30E
	v_mul_f32_e32 v82, v14, v82                                // 0000000055C0: 0AA4A50E
	v_mul_f32_e32 v83, v14, v83                                // 0000000055C4: 0AA6A70E
	v_mul_f32_dpp v80, v50, v80 row_newbcast:8 row_mask:0xf bank_mask:0xf// 0000000055C8: 0AA0A0FA FF015832
	v_mul_f32_dpp v81, v50, v81 row_newbcast:9 row_mask:0xf bank_mask:0xf// 0000000055D0: 0AA2A2FA FF015932
	v_mul_f32_dpp v82, v50, v82 row_newbcast:10 row_mask:0xf bank_mask:0xf// 0000000055D8: 0AA4A4FA FF015A32
	v_mul_f32_dpp v83, v50, v83 row_newbcast:11 row_mask:0xf bank_mask:0xf// 0000000055E0: 0AA6A6FA FF015B32
	v_cvt_f32_i32_e32 v84, v84                                 // 0000000055E8: 7EA80B54
	v_cvt_f32_i32_e32 v85, v85                                 // 0000000055EC: 7EAA0B55
	v_cvt_f32_i32_e32 v86, v86                                 // 0000000055F0: 7EAC0B56
	v_cvt_f32_i32_e32 v87, v87                                 // 0000000055F4: 7EAE0B57
	v_mul_f32_e32 v84, v15, v84                                // 0000000055F8: 0AA8A90F
	v_mul_f32_e32 v85, v15, v85                                // 0000000055FC: 0AAAAB0F
	v_mul_f32_e32 v86, v15, v86                                // 000000005600: 0AACAD0F
	v_mul_f32_e32 v87, v15, v87                                // 000000005604: 0AAEAF0F
	v_mul_f32_dpp v84, v50, v84 row_newbcast:8 row_mask:0xf bank_mask:0xf// 000000005608: 0AA8A8FA FF015832
	v_mul_f32_dpp v85, v50, v85 row_newbcast:9 row_mask:0xf bank_mask:0xf// 000000005610: 0AAAAAFA FF015932
	v_mul_f32_dpp v86, v50, v86 row_newbcast:10 row_mask:0xf bank_mask:0xf// 000000005618: 0AACACFA FF015A32
	v_mul_f32_dpp v87, v50, v87 row_newbcast:11 row_mask:0xf bank_mask:0xf// 000000005620: 0AAEAEFA FF015B32
	v_cvt_f32_i32_e32 v88, v88                                 // 000000005628: 7EB00B58
	v_cvt_f32_i32_e32 v89, v89                                 // 00000000562C: 7EB20B59
	v_cvt_f32_i32_e32 v90, v90                                 // 000000005630: 7EB40B5A
	v_cvt_f32_i32_e32 v91, v91                                 // 000000005634: 7EB60B5B
	v_mul_f32_e32 v88, v14, v88                                // 000000005638: 0AB0B10E
	v_mul_f32_e32 v89, v14, v89                                // 00000000563C: 0AB2B30E
	v_mul_f32_e32 v90, v14, v90                                // 000000005640: 0AB4B50E
	v_mul_f32_e32 v91, v14, v91                                // 000000005644: 0AB6B70E
	v_mul_f32_dpp v88, v50, v88 row_newbcast:12 row_mask:0xf bank_mask:0xf// 000000005648: 0AB0B0FA FF015C32
	v_mul_f32_dpp v89, v50, v89 row_newbcast:13 row_mask:0xf bank_mask:0xf// 000000005650: 0AB2B2FA FF015D32
	v_mul_f32_dpp v90, v50, v90 row_newbcast:14 row_mask:0xf bank_mask:0xf// 000000005658: 0AB4B4FA FF015E32
	v_mul_f32_dpp v91, v50, v91 row_newbcast:15 row_mask:0xf bank_mask:0xf// 000000005660: 0AB6B6FA FF015F32
	v_cvt_f32_i32_e32 v92, v92                                 // 000000005668: 7EB80B5C
	v_cvt_f32_i32_e32 v93, v93                                 // 00000000566C: 7EBA0B5D
	v_cvt_f32_i32_e32 v94, v94                                 // 000000005670: 7EBC0B5E
	v_cvt_f32_i32_e32 v95, v95                                 // 000000005674: 7EBE0B5F
	v_mul_f32_e32 v92, v15, v92                                // 000000005678: 0AB8B90F
	v_mul_f32_e32 v93, v15, v93                                // 00000000567C: 0ABABB0F
	v_mul_f32_e32 v94, v15, v94                                // 000000005680: 0ABCBD0F
	v_mul_f32_e32 v95, v15, v95                                // 000000005684: 0ABEBF0F
	v_mul_f32_dpp v92, v50, v92 row_newbcast:12 row_mask:0xf bank_mask:0xf// 000000005688: 0AB8B8FA FF015C32
	v_mul_f32_dpp v93, v50, v93 row_newbcast:13 row_mask:0xf bank_mask:0xf// 000000005690: 0ABABAFA FF015D32
	v_mul_f32_dpp v94, v50, v94 row_newbcast:14 row_mask:0xf bank_mask:0xf// 000000005698: 0ABCBCFA FF015E32
	v_mul_f32_dpp v95, v50, v95 row_newbcast:15 row_mask:0xf bank_mask:0xf// 0000000056A0: 0ABEBEFA FF015F32
	v_cvt_f32_i32_e32 v96, v96                                 // 0000000056A8: 7EC00B60
	v_cvt_f32_i32_e32 v97, v97                                 // 0000000056AC: 7EC20B61
	v_cvt_f32_i32_e32 v98, v98                                 // 0000000056B0: 7EC40B62
	v_cvt_f32_i32_e32 v99, v99                                 // 0000000056B4: 7EC60B63
	v_mul_f32_e32 v96, v14, v96                                // 0000000056B8: 0AC0C10E
	v_mul_f32_e32 v97, v14, v97                                // 0000000056BC: 0AC2C30E
	v_mul_f32_e32 v98, v14, v98                                // 0000000056C0: 0AC4C50E
	v_mul_f32_e32 v99, v14, v99                                // 0000000056C4: 0AC6C70E
	v_mul_f32_dpp v96, v51, v96 row_newbcast:0 row_mask:0xf bank_mask:0xf// 0000000056C8: 0AC0C0FA FF015033
	v_mul_f32_dpp v97, v51, v97 row_newbcast:1 row_mask:0xf bank_mask:0xf// 0000000056D0: 0AC2C2FA FF015133
	v_mul_f32_dpp v98, v51, v98 row_newbcast:2 row_mask:0xf bank_mask:0xf// 0000000056D8: 0AC4C4FA FF015233
	v_mul_f32_dpp v99, v51, v99 row_newbcast:3 row_mask:0xf bank_mask:0xf// 0000000056E0: 0AC6C6FA FF015333
	v_cvt_f32_i32_e32 v100, v100                               // 0000000056E8: 7EC80B64
	v_cvt_f32_i32_e32 v101, v101                               // 0000000056EC: 7ECA0B65
	v_cvt_f32_i32_e32 v102, v102                               // 0000000056F0: 7ECC0B66
	v_cvt_f32_i32_e32 v103, v103                               // 0000000056F4: 7ECE0B67
	v_mul_f32_e32 v100, v15, v100                              // 0000000056F8: 0AC8C90F
	v_mul_f32_e32 v101, v15, v101                              // 0000000056FC: 0ACACB0F
	v_mul_f32_e32 v102, v15, v102                              // 000000005700: 0ACCCD0F
	v_mul_f32_e32 v103, v15, v103                              // 000000005704: 0ACECF0F
	v_mul_f32_dpp v100, v51, v100 row_newbcast:0 row_mask:0xf bank_mask:0xf// 000000005708: 0AC8C8FA FF015033
	v_mul_f32_dpp v101, v51, v101 row_newbcast:1 row_mask:0xf bank_mask:0xf// 000000005710: 0ACACAFA FF015133
	v_mul_f32_dpp v102, v51, v102 row_newbcast:2 row_mask:0xf bank_mask:0xf// 000000005718: 0ACCCCFA FF015233
	v_mul_f32_dpp v103, v51, v103 row_newbcast:3 row_mask:0xf bank_mask:0xf// 000000005720: 0ACECEFA FF015333
	v_cvt_f32_i32_e32 v104, v104                               // 000000005728: 7ED00B68
	v_cvt_f32_i32_e32 v105, v105                               // 00000000572C: 7ED20B69
	v_cvt_f32_i32_e32 v106, v106                               // 000000005730: 7ED40B6A
	v_cvt_f32_i32_e32 v107, v107                               // 000000005734: 7ED60B6B
	v_mul_f32_e32 v104, v14, v104                              // 000000005738: 0AD0D10E
	v_mul_f32_e32 v105, v14, v105                              // 00000000573C: 0AD2D30E
	v_mul_f32_e32 v106, v14, v106                              // 000000005740: 0AD4D50E
	v_mul_f32_e32 v107, v14, v107                              // 000000005744: 0AD6D70E
	v_mul_f32_dpp v104, v51, v104 row_newbcast:4 row_mask:0xf bank_mask:0xf// 000000005748: 0AD0D0FA FF015433
	v_mul_f32_dpp v105, v51, v105 row_newbcast:5 row_mask:0xf bank_mask:0xf// 000000005750: 0AD2D2FA FF015533
	v_mul_f32_dpp v106, v51, v106 row_newbcast:6 row_mask:0xf bank_mask:0xf// 000000005758: 0AD4D4FA FF015633
	v_mul_f32_dpp v107, v51, v107 row_newbcast:7 row_mask:0xf bank_mask:0xf// 000000005760: 0AD6D6FA FF015733
	v_cvt_f32_i32_e32 v108, v108                               // 000000005768: 7ED80B6C
	v_cvt_f32_i32_e32 v109, v109                               // 00000000576C: 7EDA0B6D
	v_cvt_f32_i32_e32 v110, v110                               // 000000005770: 7EDC0B6E
	v_cvt_f32_i32_e32 v111, v111                               // 000000005774: 7EDE0B6F
	v_mul_f32_e32 v108, v15, v108                              // 000000005778: 0AD8D90F
	v_mul_f32_e32 v109, v15, v109                              // 00000000577C: 0ADADB0F
	v_mul_f32_e32 v110, v15, v110                              // 000000005780: 0ADCDD0F
	v_mul_f32_e32 v111, v15, v111                              // 000000005784: 0ADEDF0F
	v_mul_f32_dpp v108, v51, v108 row_newbcast:4 row_mask:0xf bank_mask:0xf// 000000005788: 0AD8D8FA FF015433
	v_mul_f32_dpp v109, v51, v109 row_newbcast:5 row_mask:0xf bank_mask:0xf// 000000005790: 0ADADAFA FF015533
	v_mul_f32_dpp v110, v51, v110 row_newbcast:6 row_mask:0xf bank_mask:0xf// 000000005798: 0ADCDCFA FF015633
	v_mul_f32_dpp v111, v51, v111 row_newbcast:7 row_mask:0xf bank_mask:0xf// 0000000057A0: 0ADEDEFA FF015733
	v_cvt_f32_i32_e32 v112, v112                               // 0000000057A8: 7EE00B70
	v_cvt_f32_i32_e32 v113, v113                               // 0000000057AC: 7EE20B71
	v_cvt_f32_i32_e32 v114, v114                               // 0000000057B0: 7EE40B72
	v_cvt_f32_i32_e32 v115, v115                               // 0000000057B4: 7EE60B73
	v_mul_f32_e32 v112, v14, v112                              // 0000000057B8: 0AE0E10E
	v_mul_f32_e32 v113, v14, v113                              // 0000000057BC: 0AE2E30E
	v_mul_f32_e32 v114, v14, v114                              // 0000000057C0: 0AE4E50E
	v_mul_f32_e32 v115, v14, v115                              // 0000000057C4: 0AE6E70E
	v_mul_f32_dpp v112, v51, v112 row_newbcast:8 row_mask:0xf bank_mask:0xf// 0000000057C8: 0AE0E0FA FF015833
	v_mul_f32_dpp v113, v51, v113 row_newbcast:9 row_mask:0xf bank_mask:0xf// 0000000057D0: 0AE2E2FA FF015933
	v_mul_f32_dpp v114, v51, v114 row_newbcast:10 row_mask:0xf bank_mask:0xf// 0000000057D8: 0AE4E4FA FF015A33
	v_mul_f32_dpp v115, v51, v115 row_newbcast:11 row_mask:0xf bank_mask:0xf// 0000000057E0: 0AE6E6FA FF015B33
	v_cvt_f32_i32_e32 v116, v116                               // 0000000057E8: 7EE80B74
	v_cvt_f32_i32_e32 v117, v117                               // 0000000057EC: 7EEA0B75
	v_cvt_f32_i32_e32 v118, v118                               // 0000000057F0: 7EEC0B76
	v_cvt_f32_i32_e32 v119, v119                               // 0000000057F4: 7EEE0B77
	v_mul_f32_e32 v116, v15, v116                              // 0000000057F8: 0AE8E90F
	v_mul_f32_e32 v117, v15, v117                              // 0000000057FC: 0AEAEB0F
	v_mul_f32_e32 v118, v15, v118                              // 000000005800: 0AECED0F
	v_mul_f32_e32 v119, v15, v119                              // 000000005804: 0AEEEF0F
	v_mul_f32_dpp v116, v51, v116 row_newbcast:8 row_mask:0xf bank_mask:0xf// 000000005808: 0AE8E8FA FF015833
	v_mul_f32_dpp v117, v51, v117 row_newbcast:9 row_mask:0xf bank_mask:0xf// 000000005810: 0AEAEAFA FF015933
	v_mul_f32_dpp v118, v51, v118 row_newbcast:10 row_mask:0xf bank_mask:0xf// 000000005818: 0AECECFA FF015A33
	v_mul_f32_dpp v119, v51, v119 row_newbcast:11 row_mask:0xf bank_mask:0xf// 000000005820: 0AEEEEFA FF015B33
	v_cvt_f32_i32_e32 v120, v120                               // 000000005828: 7EF00B78
	v_cvt_f32_i32_e32 v121, v121                               // 00000000582C: 7EF20B79
	v_cvt_f32_i32_e32 v122, v122                               // 000000005830: 7EF40B7A
	v_cvt_f32_i32_e32 v123, v123                               // 000000005834: 7EF60B7B
	v_mul_f32_e32 v120, v14, v120                              // 000000005838: 0AF0F10E
	v_mul_f32_e32 v121, v14, v121                              // 00000000583C: 0AF2F30E
	v_mul_f32_e32 v122, v14, v122                              // 000000005840: 0AF4F50E
	v_mul_f32_e32 v123, v14, v123                              // 000000005844: 0AF6F70E
	v_mul_f32_dpp v120, v51, v120 row_newbcast:12 row_mask:0xf bank_mask:0xf// 000000005848: 0AF0F0FA FF015C33
	v_mul_f32_dpp v121, v51, v121 row_newbcast:13 row_mask:0xf bank_mask:0xf// 000000005850: 0AF2F2FA FF015D33
	v_mul_f32_dpp v122, v51, v122 row_newbcast:14 row_mask:0xf bank_mask:0xf// 000000005858: 0AF4F4FA FF015E33
	v_mul_f32_dpp v123, v51, v123 row_newbcast:15 row_mask:0xf bank_mask:0xf// 000000005860: 0AF6F6FA FF015F33
	v_cvt_f32_i32_e32 v124, v124                               // 000000005868: 7EF80B7C
	v_cvt_f32_i32_e32 v125, v125                               // 00000000586C: 7EFA0B7D
	v_cvt_f32_i32_e32 v126, v126                               // 000000005870: 7EFC0B7E
	v_cvt_f32_i32_e32 v127, v127                               // 000000005874: 7EFE0B7F
	v_mul_f32_e32 v124, v15, v124                              // 000000005878: 0AF8F90F
	v_mul_f32_e32 v125, v15, v125                              // 00000000587C: 0AFAFB0F
	v_mul_f32_e32 v126, v15, v126                              // 000000005880: 0AFCFD0F
	v_mul_f32_e32 v127, v15, v127                              // 000000005884: 0AFEFF0F
	v_mul_f32_dpp v124, v51, v124 row_newbcast:12 row_mask:0xf bank_mask:0xf// 000000005888: 0AF8F8FA FF015C33
	v_mul_f32_dpp v125, v51, v125 row_newbcast:13 row_mask:0xf bank_mask:0xf// 000000005890: 0AFAFAFA FF015D33
	v_mul_f32_dpp v126, v51, v126 row_newbcast:14 row_mask:0xf bank_mask:0xf// 000000005898: 0AFCFCFA FF015E33
	v_mul_f32_dpp v127, v51, v127 row_newbcast:15 row_mask:0xf bank_mask:0xf// 0000000058A0: 0AFEFEFA FF015F33
	s_waitcnt vmcnt(28)                                        // 0000000058A8: BF8C4F7C
	buffer_load_dwordx4 a[0:3], v42, s[12:15], 0 offen         // 0000000058AC: E05C1000 8083002A
	v_mul_f32_e64 v52, -v128, s6                               // 0000000058B4: D1050034 20000D80
	v_mul_f32_e64 v53, -v129, s6                               // 0000000058BC: D1050035 20000D81
	v_mul_f32_e64 v54, -v130, s6                               // 0000000058C4: D1050036 20000D82
	v_mul_f32_e64 v55, -v131, s6                               // 0000000058CC: D1050037 20000D83
	v_exp_f32_e32 v52, v52                                     // 0000000058D4: 7E684134
	v_exp_f32_e32 v53, v53                                     // 0000000058D8: 7E6A4135
	v_exp_f32_e32 v54, v54                                     // 0000000058DC: 7E6C4136
	v_exp_f32_e32 v55, v55                                     // 0000000058E0: 7E6E4137
	buffer_load_dwordx4 a[4:7], v43, s[12:15], 0 offen         // 0000000058E4: E05C1000 8083042B
	v_add_f32_e64 v52, v52, 1.0                                // 0000000058EC: D1010034 0001E534
	v_add_f32_e64 v53, v53, 1.0                                // 0000000058F4: D1010035 0001E535
	v_add_f32_e64 v54, v54, 1.0                                // 0000000058FC: D1010036 0001E536
	v_add_f32_e64 v55, v55, 1.0                                // 000000005904: D1010037 0001E537
	v_rcp_f32_e32 v52, v52                                     // 00000000590C: 7E684534
	v_rcp_f32_e32 v53, v53                                     // 000000005910: 7E6A4535
	v_rcp_f32_e32 v54, v54                                     // 000000005914: 7E6C4536
	v_rcp_f32_e32 v55, v55                                     // 000000005918: 7E6E4537
	v_mul_f32_e32 v128, v128, v52                              // 00000000591C: 0B006980
	v_mul_f32_e32 v129, v129, v53                              // 000000005920: 0B026B81
	v_mul_f32_e32 v130, v130, v54                              // 000000005924: 0B046D82
	v_mul_f32_e32 v131, v131, v55                              // 000000005928: 0B066F83
	v_mul_f32_e32 v128, v128, v64                              // 00000000592C: 0B008180
	v_mul_f32_e32 v129, v129, v65                              // 000000005930: 0B028381
	v_mul_f32_e32 v130, v130, v66                              // 000000005934: 0B048582
	v_mul_f32_e32 v131, v131, v67                              // 000000005938: 0B068783
	buffer_load_dwordx4 a[8:11], v44, s[12:15], 0 offen        // 00000000593C: E05C1000 8083082C
	v_mul_f32_e64 v52, -v132, s6                               // 000000005944: D1050034 20000D84
	v_mul_f32_e64 v53, -v133, s6                               // 00000000594C: D1050035 20000D85
	v_mul_f32_e64 v54, -v134, s6                               // 000000005954: D1050036 20000D86
	v_mul_f32_e64 v55, -v135, s6                               // 00000000595C: D1050037 20000D87
	v_exp_f32_e32 v52, v52                                     // 000000005964: 7E684134
	v_exp_f32_e32 v53, v53                                     // 000000005968: 7E6A4135
	v_exp_f32_e32 v54, v54                                     // 00000000596C: 7E6C4136
	v_exp_f32_e32 v55, v55                                     // 000000005970: 7E6E4137
	buffer_load_dwordx4 a[12:15], v45, s[12:15], 0 offen       // 000000005974: E05C1000 80830C2D
	s_add_u32 s12, s78, s12                                    // 00000000597C: 800C0C4E
	s_addc_u32 s13, 0, s13                                     // 000000005980: 820D0D80
	v_add_f32_e64 v52, v52, 1.0                                // 000000005984: D1010034 0001E534
	v_add_f32_e64 v53, v53, 1.0                                // 00000000598C: D1010035 0001E535
	v_add_f32_e64 v54, v54, 1.0                                // 000000005994: D1010036 0001E536
	v_add_f32_e64 v55, v55, 1.0                                // 00000000599C: D1010037 0001E537
	v_rcp_f32_e32 v52, v52                                     // 0000000059A4: 7E684534
	v_rcp_f32_e32 v53, v53                                     // 0000000059A8: 7E6A4535
	v_rcp_f32_e32 v54, v54                                     // 0000000059AC: 7E6C4536
	v_rcp_f32_e32 v55, v55                                     // 0000000059B0: 7E6E4537
	v_mul_f32_e32 v132, v132, v52                              // 0000000059B4: 0B086984
	v_mul_f32_e32 v133, v133, v53                              // 0000000059B8: 0B0A6B85
	v_mul_f32_e32 v134, v134, v54                              // 0000000059BC: 0B0C6D86
	v_mul_f32_e32 v135, v135, v55                              // 0000000059C0: 0B0E6F87
	v_mul_f32_e32 v132, v132, v68                              // 0000000059C4: 0B088984
	v_mul_f32_e32 v133, v133, v69                              // 0000000059C8: 0B0A8B85
	v_mul_f32_e32 v134, v134, v70                              // 0000000059CC: 0B0C8D86
	v_mul_f32_e32 v135, v135, v71                              // 0000000059D0: 0B0E8F87
	s_waitcnt vmcnt(28)                                        // 0000000059D4: BF8C4F7C
	buffer_load_dwordx4 a[16:19], v42, s[12:15], 0 offen       // 0000000059D8: E05C1000 8083102A
	v_mul_f32_e64 v52, -v136, s6                               // 0000000059E0: D1050034 20000D88
	v_mul_f32_e64 v53, -v137, s6                               // 0000000059E8: D1050035 20000D89
	v_mul_f32_e64 v54, -v138, s6                               // 0000000059F0: D1050036 20000D8A
	v_mul_f32_e64 v55, -v139, s6                               // 0000000059F8: D1050037 20000D8B
	v_exp_f32_e32 v52, v52                                     // 000000005A00: 7E684134
	v_exp_f32_e32 v53, v53                                     // 000000005A04: 7E6A4135
	v_exp_f32_e32 v54, v54                                     // 000000005A08: 7E6C4136
	v_exp_f32_e32 v55, v55                                     // 000000005A0C: 7E6E4137
	buffer_load_dwordx4 a[20:23], v43, s[12:15], 0 offen       // 000000005A10: E05C1000 8083142B
	v_add_f32_e64 v52, v52, 1.0                                // 000000005A18: D1010034 0001E534
	v_add_f32_e64 v53, v53, 1.0                                // 000000005A20: D1010035 0001E535
	v_add_f32_e64 v54, v54, 1.0                                // 000000005A28: D1010036 0001E536
	v_add_f32_e64 v55, v55, 1.0                                // 000000005A30: D1010037 0001E537
	v_rcp_f32_e32 v52, v52                                     // 000000005A38: 7E684534
	v_rcp_f32_e32 v53, v53                                     // 000000005A3C: 7E6A4535
	v_rcp_f32_e32 v54, v54                                     // 000000005A40: 7E6C4536
	v_rcp_f32_e32 v55, v55                                     // 000000005A44: 7E6E4537
	v_mul_f32_e32 v136, v136, v52                              // 000000005A48: 0B106988
	v_mul_f32_e32 v137, v137, v53                              // 000000005A4C: 0B126B89
	v_mul_f32_e32 v138, v138, v54                              // 000000005A50: 0B146D8A
	v_mul_f32_e32 v139, v139, v55                              // 000000005A54: 0B166F8B
	v_mul_f32_e32 v136, v136, v72                              // 000000005A58: 0B109188
	v_mul_f32_e32 v137, v137, v73                              // 000000005A5C: 0B129389
	v_mul_f32_e32 v138, v138, v74                              // 000000005A60: 0B14958A
	v_mul_f32_e32 v139, v139, v75                              // 000000005A64: 0B16978B
	buffer_load_dwordx4 a[24:27], v44, s[12:15], 0 offen       // 000000005A68: E05C1000 8083182C
	v_mul_f32_e64 v52, -v140, s6                               // 000000005A70: D1050034 20000D8C
	v_mul_f32_e64 v53, -v141, s6                               // 000000005A78: D1050035 20000D8D
	v_mul_f32_e64 v54, -v142, s6                               // 000000005A80: D1050036 20000D8E
	v_mul_f32_e64 v55, -v143, s6                               // 000000005A88: D1050037 20000D8F
	v_exp_f32_e32 v52, v52                                     // 000000005A90: 7E684134
	v_exp_f32_e32 v53, v53                                     // 000000005A94: 7E6A4135
	v_exp_f32_e32 v54, v54                                     // 000000005A98: 7E6C4136
	v_exp_f32_e32 v55, v55                                     // 000000005A9C: 7E6E4137
	buffer_load_dwordx4 a[28:31], v45, s[12:15], 0 offen       // 000000005AA0: E05C1000 80831C2D
	s_add_u32 s12, s78, s12                                    // 000000005AA8: 800C0C4E
	s_addc_u32 s13, 0, s13                                     // 000000005AAC: 820D0D80
	v_add_f32_e64 v52, v52, 1.0                                // 000000005AB0: D1010034 0001E534
	v_add_f32_e64 v53, v53, 1.0                                // 000000005AB8: D1010035 0001E535
	v_add_f32_e64 v54, v54, 1.0                                // 000000005AC0: D1010036 0001E536
	v_add_f32_e64 v55, v55, 1.0                                // 000000005AC8: D1010037 0001E537
	v_rcp_f32_e32 v52, v52                                     // 000000005AD0: 7E684534
	v_rcp_f32_e32 v53, v53                                     // 000000005AD4: 7E6A4535
	v_rcp_f32_e32 v54, v54                                     // 000000005AD8: 7E6C4536
	v_rcp_f32_e32 v55, v55                                     // 000000005ADC: 7E6E4537
	v_mul_f32_e32 v140, v140, v52                              // 000000005AE0: 0B18698C
	v_mul_f32_e32 v141, v141, v53                              // 000000005AE4: 0B1A6B8D
	v_mul_f32_e32 v142, v142, v54                              // 000000005AE8: 0B1C6D8E
	v_mul_f32_e32 v143, v143, v55                              // 000000005AEC: 0B1E6F8F
	v_mul_f32_e32 v140, v140, v76                              // 000000005AF0: 0B18998C
	v_mul_f32_e32 v141, v141, v77                              // 000000005AF4: 0B1A9B8D
	v_mul_f32_e32 v142, v142, v78                              // 000000005AF8: 0B1C9D8E
	v_mul_f32_e32 v143, v143, v79                              // 000000005AFC: 0B1E9F8F
	s_waitcnt vmcnt(28)                                        // 000000005B00: BF8C4F7C
	buffer_load_dwordx4 a[32:35], v42, s[12:15], 0 offen       // 000000005B04: E05C1000 8083202A
	v_mul_f32_e64 v52, -v144, s6                               // 000000005B0C: D1050034 20000D90
	v_mul_f32_e64 v53, -v145, s6                               // 000000005B14: D1050035 20000D91
	v_mul_f32_e64 v54, -v146, s6                               // 000000005B1C: D1050036 20000D92
	v_mul_f32_e64 v55, -v147, s6                               // 000000005B24: D1050037 20000D93
	v_exp_f32_e32 v52, v52                                     // 000000005B2C: 7E684134
	v_exp_f32_e32 v53, v53                                     // 000000005B30: 7E6A4135
	v_exp_f32_e32 v54, v54                                     // 000000005B34: 7E6C4136
	v_exp_f32_e32 v55, v55                                     // 000000005B38: 7E6E4137
	buffer_load_dwordx4 a[36:39], v43, s[12:15], 0 offen       // 000000005B3C: E05C1000 8083242B
	v_add_f32_e64 v52, v52, 1.0                                // 000000005B44: D1010034 0001E534
	v_add_f32_e64 v53, v53, 1.0                                // 000000005B4C: D1010035 0001E535
	v_add_f32_e64 v54, v54, 1.0                                // 000000005B54: D1010036 0001E536
	v_add_f32_e64 v55, v55, 1.0                                // 000000005B5C: D1010037 0001E537
	v_rcp_f32_e32 v52, v52                                     // 000000005B64: 7E684534
	v_rcp_f32_e32 v53, v53                                     // 000000005B68: 7E6A4535
	v_rcp_f32_e32 v54, v54                                     // 000000005B6C: 7E6C4536
	v_rcp_f32_e32 v55, v55                                     // 000000005B70: 7E6E4537
	v_mul_f32_e32 v144, v144, v52                              // 000000005B74: 0B206990
	v_mul_f32_e32 v145, v145, v53                              // 000000005B78: 0B226B91
	v_mul_f32_e32 v146, v146, v54                              // 000000005B7C: 0B246D92
	v_mul_f32_e32 v147, v147, v55                              // 000000005B80: 0B266F93
	v_mul_f32_e32 v144, v144, v80                              // 000000005B84: 0B20A190
	v_mul_f32_e32 v145, v145, v81                              // 000000005B88: 0B22A391
	v_mul_f32_e32 v146, v146, v82                              // 000000005B8C: 0B24A592
	v_mul_f32_e32 v147, v147, v83                              // 000000005B90: 0B26A793
	buffer_load_dwordx4 a[40:43], v44, s[12:15], 0 offen       // 000000005B94: E05C1000 8083282C
	v_mul_f32_e64 v52, -v148, s6                               // 000000005B9C: D1050034 20000D94
	v_mul_f32_e64 v53, -v149, s6                               // 000000005BA4: D1050035 20000D95
	v_mul_f32_e64 v54, -v150, s6                               // 000000005BAC: D1050036 20000D96
	v_mul_f32_e64 v55, -v151, s6                               // 000000005BB4: D1050037 20000D97
	v_exp_f32_e32 v52, v52                                     // 000000005BBC: 7E684134
	v_exp_f32_e32 v53, v53                                     // 000000005BC0: 7E6A4135
	v_exp_f32_e32 v54, v54                                     // 000000005BC4: 7E6C4136
	v_exp_f32_e32 v55, v55                                     // 000000005BC8: 7E6E4137
	buffer_load_dwordx4 a[44:47], v45, s[12:15], 0 offen       // 000000005BCC: E05C1000 80832C2D
	s_add_u32 s12, s78, s12                                    // 000000005BD4: 800C0C4E
	s_addc_u32 s13, 0, s13                                     // 000000005BD8: 820D0D80
	v_add_f32_e64 v52, v52, 1.0                                // 000000005BDC: D1010034 0001E534
	v_add_f32_e64 v53, v53, 1.0                                // 000000005BE4: D1010035 0001E535
	v_add_f32_e64 v54, v54, 1.0                                // 000000005BEC: D1010036 0001E536
	v_add_f32_e64 v55, v55, 1.0                                // 000000005BF4: D1010037 0001E537
	v_rcp_f32_e32 v52, v52                                     // 000000005BFC: 7E684534
	v_rcp_f32_e32 v53, v53                                     // 000000005C00: 7E6A4535
	v_rcp_f32_e32 v54, v54                                     // 000000005C04: 7E6C4536
	v_rcp_f32_e32 v55, v55                                     // 000000005C08: 7E6E4537
	v_mul_f32_e32 v148, v148, v52                              // 000000005C0C: 0B286994
	v_mul_f32_e32 v149, v149, v53                              // 000000005C10: 0B2A6B95
	v_mul_f32_e32 v150, v150, v54                              // 000000005C14: 0B2C6D96
	v_mul_f32_e32 v151, v151, v55                              // 000000005C18: 0B2E6F97
	v_mul_f32_e32 v148, v148, v84                              // 000000005C1C: 0B28A994
	v_mul_f32_e32 v149, v149, v85                              // 000000005C20: 0B2AAB95
	v_mul_f32_e32 v150, v150, v86                              // 000000005C24: 0B2CAD96
	v_mul_f32_e32 v151, v151, v87                              // 000000005C28: 0B2EAF97
	s_waitcnt vmcnt(28)                                        // 000000005C2C: BF8C4F7C
	buffer_load_dwordx4 a[48:51], v42, s[12:15], 0 offen       // 000000005C30: E05C1000 8083302A
	v_mul_f32_e64 v52, -v152, s6                               // 000000005C38: D1050034 20000D98
	v_mul_f32_e64 v53, -v153, s6                               // 000000005C40: D1050035 20000D99
	v_mul_f32_e64 v54, -v154, s6                               // 000000005C48: D1050036 20000D9A
	v_mul_f32_e64 v55, -v155, s6                               // 000000005C50: D1050037 20000D9B
	v_exp_f32_e32 v52, v52                                     // 000000005C58: 7E684134
	v_exp_f32_e32 v53, v53                                     // 000000005C5C: 7E6A4135
	v_exp_f32_e32 v54, v54                                     // 000000005C60: 7E6C4136
	v_exp_f32_e32 v55, v55                                     // 000000005C64: 7E6E4137
	buffer_load_dwordx4 a[52:55], v43, s[12:15], 0 offen       // 000000005C68: E05C1000 8083342B
	v_add_f32_e64 v52, v52, 1.0                                // 000000005C70: D1010034 0001E534
	v_add_f32_e64 v53, v53, 1.0                                // 000000005C78: D1010035 0001E535
	v_add_f32_e64 v54, v54, 1.0                                // 000000005C80: D1010036 0001E536
	v_add_f32_e64 v55, v55, 1.0                                // 000000005C88: D1010037 0001E537
	v_rcp_f32_e32 v52, v52                                     // 000000005C90: 7E684534
	v_rcp_f32_e32 v53, v53                                     // 000000005C94: 7E6A4535
	v_rcp_f32_e32 v54, v54                                     // 000000005C98: 7E6C4536
	v_rcp_f32_e32 v55, v55                                     // 000000005C9C: 7E6E4537
	v_mul_f32_e32 v152, v152, v52                              // 000000005CA0: 0B306998
	v_mul_f32_e32 v153, v153, v53                              // 000000005CA4: 0B326B99
	v_mul_f32_e32 v154, v154, v54                              // 000000005CA8: 0B346D9A
	v_mul_f32_e32 v155, v155, v55                              // 000000005CAC: 0B366F9B
	v_mul_f32_e32 v152, v152, v88                              // 000000005CB0: 0B30B198
	v_mul_f32_e32 v153, v153, v89                              // 000000005CB4: 0B32B399
	v_mul_f32_e32 v154, v154, v90                              // 000000005CB8: 0B34B59A
	v_mul_f32_e32 v155, v155, v91                              // 000000005CBC: 0B36B79B
	buffer_load_dwordx4 a[56:59], v44, s[12:15], 0 offen       // 000000005CC0: E05C1000 8083382C
	v_mul_f32_e64 v52, -v156, s6                               // 000000005CC8: D1050034 20000D9C
	v_mul_f32_e64 v53, -v157, s6                               // 000000005CD0: D1050035 20000D9D
	v_mul_f32_e64 v54, -v158, s6                               // 000000005CD8: D1050036 20000D9E
	v_mul_f32_e64 v55, -v159, s6                               // 000000005CE0: D1050037 20000D9F
	v_exp_f32_e32 v52, v52                                     // 000000005CE8: 7E684134
	v_exp_f32_e32 v53, v53                                     // 000000005CEC: 7E6A4135
	v_exp_f32_e32 v54, v54                                     // 000000005CF0: 7E6C4136
	v_exp_f32_e32 v55, v55                                     // 000000005CF4: 7E6E4137
	buffer_load_dwordx4 a[60:63], v45, s[12:15], 0 offen       // 000000005CF8: E05C1000 80833C2D
	s_add_u32 s12, s78, s12                                    // 000000005D00: 800C0C4E
	s_addc_u32 s13, 0, s13                                     // 000000005D04: 820D0D80
	v_add_f32_e64 v52, v52, 1.0                                // 000000005D08: D1010034 0001E534
	v_add_f32_e64 v53, v53, 1.0                                // 000000005D10: D1010035 0001E535
	v_add_f32_e64 v54, v54, 1.0                                // 000000005D18: D1010036 0001E536
	v_add_f32_e64 v55, v55, 1.0                                // 000000005D20: D1010037 0001E537
	v_rcp_f32_e32 v52, v52                                     // 000000005D28: 7E684534
	v_rcp_f32_e32 v53, v53                                     // 000000005D2C: 7E6A4535
	v_rcp_f32_e32 v54, v54                                     // 000000005D30: 7E6C4536
	v_rcp_f32_e32 v55, v55                                     // 000000005D34: 7E6E4537
	v_mul_f32_e32 v156, v156, v52                              // 000000005D38: 0B38699C
	v_mul_f32_e32 v157, v157, v53                              // 000000005D3C: 0B3A6B9D
	v_mul_f32_e32 v158, v158, v54                              // 000000005D40: 0B3C6D9E
	v_mul_f32_e32 v159, v159, v55                              // 000000005D44: 0B3E6F9F
	v_mul_f32_e32 v156, v156, v92                              // 000000005D48: 0B38B99C
	v_mul_f32_e32 v157, v157, v93                              // 000000005D4C: 0B3ABB9D
	v_mul_f32_e32 v158, v158, v94                              // 000000005D50: 0B3CBD9E
	v_mul_f32_e32 v159, v159, v95                              // 000000005D54: 0B3EBF9F
	s_waitcnt vmcnt(28)                                        // 000000005D58: BF8C4F7C
	buffer_load_dwordx4 a[64:67], v42, s[12:15], 0 offen       // 000000005D5C: E05C1000 8083402A
	v_mul_f32_e64 v52, -v160, s6                               // 000000005D64: D1050034 20000DA0
	v_mul_f32_e64 v53, -v161, s6                               // 000000005D6C: D1050035 20000DA1
	v_mul_f32_e64 v54, -v162, s6                               // 000000005D74: D1050036 20000DA2
	v_mul_f32_e64 v55, -v163, s6                               // 000000005D7C: D1050037 20000DA3
	v_exp_f32_e32 v52, v52                                     // 000000005D84: 7E684134
	v_exp_f32_e32 v53, v53                                     // 000000005D88: 7E6A4135
	v_exp_f32_e32 v54, v54                                     // 000000005D8C: 7E6C4136
	v_exp_f32_e32 v55, v55                                     // 000000005D90: 7E6E4137
	buffer_load_dwordx4 a[68:71], v43, s[12:15], 0 offen       // 000000005D94: E05C1000 8083442B
	v_add_f32_e64 v52, v52, 1.0                                // 000000005D9C: D1010034 0001E534
	v_add_f32_e64 v53, v53, 1.0                                // 000000005DA4: D1010035 0001E535
	v_add_f32_e64 v54, v54, 1.0                                // 000000005DAC: D1010036 0001E536
	v_add_f32_e64 v55, v55, 1.0                                // 000000005DB4: D1010037 0001E537
	v_rcp_f32_e32 v52, v52                                     // 000000005DBC: 7E684534
	v_rcp_f32_e32 v53, v53                                     // 000000005DC0: 7E6A4535
	v_rcp_f32_e32 v54, v54                                     // 000000005DC4: 7E6C4536
	v_rcp_f32_e32 v55, v55                                     // 000000005DC8: 7E6E4537
	v_mul_f32_e32 v160, v160, v52                              // 000000005DCC: 0B4069A0
	v_mul_f32_e32 v161, v161, v53                              // 000000005DD0: 0B426BA1
	v_mul_f32_e32 v162, v162, v54                              // 000000005DD4: 0B446DA2
	v_mul_f32_e32 v163, v163, v55                              // 000000005DD8: 0B466FA3
	v_mul_f32_e32 v160, v160, v96                              // 000000005DDC: 0B40C1A0
	v_mul_f32_e32 v161, v161, v97                              // 000000005DE0: 0B42C3A1
	v_mul_f32_e32 v162, v162, v98                              // 000000005DE4: 0B44C5A2
	v_mul_f32_e32 v163, v163, v99                              // 000000005DE8: 0B46C7A3
	buffer_load_dwordx4 a[72:75], v44, s[12:15], 0 offen       // 000000005DEC: E05C1000 8083482C
	v_mul_f32_e64 v52, -v164, s6                               // 000000005DF4: D1050034 20000DA4
	v_mul_f32_e64 v53, -v165, s6                               // 000000005DFC: D1050035 20000DA5
	v_mul_f32_e64 v54, -v166, s6                               // 000000005E04: D1050036 20000DA6
	v_mul_f32_e64 v55, -v167, s6                               // 000000005E0C: D1050037 20000DA7
	v_exp_f32_e32 v52, v52                                     // 000000005E14: 7E684134
	v_exp_f32_e32 v53, v53                                     // 000000005E18: 7E6A4135
	v_exp_f32_e32 v54, v54                                     // 000000005E1C: 7E6C4136
	v_exp_f32_e32 v55, v55                                     // 000000005E20: 7E6E4137
	buffer_load_dwordx4 a[76:79], v45, s[12:15], 0 offen       // 000000005E24: E05C1000 80834C2D
	s_add_u32 s12, s78, s12                                    // 000000005E2C: 800C0C4E
	s_addc_u32 s13, 0, s13                                     // 000000005E30: 820D0D80
	v_add_f32_e64 v52, v52, 1.0                                // 000000005E34: D1010034 0001E534
	v_add_f32_e64 v53, v53, 1.0                                // 000000005E3C: D1010035 0001E535
	v_add_f32_e64 v54, v54, 1.0                                // 000000005E44: D1010036 0001E536
	v_add_f32_e64 v55, v55, 1.0                                // 000000005E4C: D1010037 0001E537
	v_rcp_f32_e32 v52, v52                                     // 000000005E54: 7E684534
	v_rcp_f32_e32 v53, v53                                     // 000000005E58: 7E6A4535
	v_rcp_f32_e32 v54, v54                                     // 000000005E5C: 7E6C4536
	v_rcp_f32_e32 v55, v55                                     // 000000005E60: 7E6E4537
	v_mul_f32_e32 v164, v164, v52                              // 000000005E64: 0B4869A4
	v_mul_f32_e32 v165, v165, v53                              // 000000005E68: 0B4A6BA5
	v_mul_f32_e32 v166, v166, v54                              // 000000005E6C: 0B4C6DA6
	v_mul_f32_e32 v167, v167, v55                              // 000000005E70: 0B4E6FA7
	v_mul_f32_e32 v164, v164, v100                             // 000000005E74: 0B48C9A4
	v_mul_f32_e32 v165, v165, v101                             // 000000005E78: 0B4ACBA5
	v_mul_f32_e32 v166, v166, v102                             // 000000005E7C: 0B4CCDA6
	v_mul_f32_e32 v167, v167, v103                             // 000000005E80: 0B4ECFA7
	s_waitcnt vmcnt(28)                                        // 000000005E84: BF8C4F7C
	buffer_load_dwordx4 a[80:83], v42, s[12:15], 0 offen       // 000000005E88: E05C1000 8083502A
	v_mul_f32_e64 v52, -v168, s6                               // 000000005E90: D1050034 20000DA8
	v_mul_f32_e64 v53, -v169, s6                               // 000000005E98: D1050035 20000DA9
	v_mul_f32_e64 v54, -v170, s6                               // 000000005EA0: D1050036 20000DAA
	v_mul_f32_e64 v55, -v171, s6                               // 000000005EA8: D1050037 20000DAB
	v_exp_f32_e32 v52, v52                                     // 000000005EB0: 7E684134
	v_exp_f32_e32 v53, v53                                     // 000000005EB4: 7E6A4135
	v_exp_f32_e32 v54, v54                                     // 000000005EB8: 7E6C4136
	v_exp_f32_e32 v55, v55                                     // 000000005EBC: 7E6E4137
	buffer_load_dwordx4 a[84:87], v43, s[12:15], 0 offen       // 000000005EC0: E05C1000 8083542B
	v_add_f32_e64 v52, v52, 1.0                                // 000000005EC8: D1010034 0001E534
	v_add_f32_e64 v53, v53, 1.0                                // 000000005ED0: D1010035 0001E535
	v_add_f32_e64 v54, v54, 1.0                                // 000000005ED8: D1010036 0001E536
	v_add_f32_e64 v55, v55, 1.0                                // 000000005EE0: D1010037 0001E537
	v_rcp_f32_e32 v52, v52                                     // 000000005EE8: 7E684534
	v_rcp_f32_e32 v53, v53                                     // 000000005EEC: 7E6A4535
	v_rcp_f32_e32 v54, v54                                     // 000000005EF0: 7E6C4536
	v_rcp_f32_e32 v55, v55                                     // 000000005EF4: 7E6E4537
	v_mul_f32_e32 v168, v168, v52                              // 000000005EF8: 0B5069A8
	v_mul_f32_e32 v169, v169, v53                              // 000000005EFC: 0B526BA9
	v_mul_f32_e32 v170, v170, v54                              // 000000005F00: 0B546DAA
	v_mul_f32_e32 v171, v171, v55                              // 000000005F04: 0B566FAB
	v_mul_f32_e32 v168, v168, v104                             // 000000005F08: 0B50D1A8
	v_mul_f32_e32 v169, v169, v105                             // 000000005F0C: 0B52D3A9
	v_mul_f32_e32 v170, v170, v106                             // 000000005F10: 0B54D5AA
	v_mul_f32_e32 v171, v171, v107                             // 000000005F14: 0B56D7AB
	buffer_load_dwordx4 a[88:91], v44, s[12:15], 0 offen       // 000000005F18: E05C1000 8083582C
	v_mul_f32_e64 v52, -v172, s6                               // 000000005F20: D1050034 20000DAC
	v_mul_f32_e64 v53, -v173, s6                               // 000000005F28: D1050035 20000DAD
	v_mul_f32_e64 v54, -v174, s6                               // 000000005F30: D1050036 20000DAE
	v_mul_f32_e64 v55, -v175, s6                               // 000000005F38: D1050037 20000DAF
	v_exp_f32_e32 v52, v52                                     // 000000005F40: 7E684134
	v_exp_f32_e32 v53, v53                                     // 000000005F44: 7E6A4135
	v_exp_f32_e32 v54, v54                                     // 000000005F48: 7E6C4136
	v_exp_f32_e32 v55, v55                                     // 000000005F4C: 7E6E4137
	buffer_load_dwordx4 a[92:95], v45, s[12:15], 0 offen       // 000000005F50: E05C1000 80835C2D
	s_add_u32 s12, s78, s12                                    // 000000005F58: 800C0C4E
	s_addc_u32 s13, 0, s13                                     // 000000005F5C: 820D0D80
	v_add_f32_e64 v52, v52, 1.0                                // 000000005F60: D1010034 0001E534
	v_add_f32_e64 v53, v53, 1.0                                // 000000005F68: D1010035 0001E535
	v_add_f32_e64 v54, v54, 1.0                                // 000000005F70: D1010036 0001E536
	v_add_f32_e64 v55, v55, 1.0                                // 000000005F78: D1010037 0001E537
	v_rcp_f32_e32 v52, v52                                     // 000000005F80: 7E684534
	v_rcp_f32_e32 v53, v53                                     // 000000005F84: 7E6A4535
	v_rcp_f32_e32 v54, v54                                     // 000000005F88: 7E6C4536
	v_rcp_f32_e32 v55, v55                                     // 000000005F8C: 7E6E4537
	v_mul_f32_e32 v172, v172, v52                              // 000000005F90: 0B5869AC
	v_mul_f32_e32 v173, v173, v53                              // 000000005F94: 0B5A6BAD
	v_mul_f32_e32 v174, v174, v54                              // 000000005F98: 0B5C6DAE
	v_mul_f32_e32 v175, v175, v55                              // 000000005F9C: 0B5E6FAF
	v_mul_f32_e32 v172, v172, v108                             // 000000005FA0: 0B58D9AC
	v_mul_f32_e32 v173, v173, v109                             // 000000005FA4: 0B5ADBAD
	v_mul_f32_e32 v174, v174, v110                             // 000000005FA8: 0B5CDDAE
	v_mul_f32_e32 v175, v175, v111                             // 000000005FAC: 0B5EDFAF
	s_waitcnt vmcnt(28)                                        // 000000005FB0: BF8C4F7C
	buffer_load_dwordx4 a[96:99], v42, s[12:15], 0 offen       // 000000005FB4: E05C1000 8083602A
	v_mul_f32_e64 v52, -v176, s6                               // 000000005FBC: D1050034 20000DB0
	v_mul_f32_e64 v53, -v177, s6                               // 000000005FC4: D1050035 20000DB1
	v_mul_f32_e64 v54, -v178, s6                               // 000000005FCC: D1050036 20000DB2
	v_mul_f32_e64 v55, -v179, s6                               // 000000005FD4: D1050037 20000DB3
	v_exp_f32_e32 v52, v52                                     // 000000005FDC: 7E684134
	v_exp_f32_e32 v53, v53                                     // 000000005FE0: 7E6A4135
	v_exp_f32_e32 v54, v54                                     // 000000005FE4: 7E6C4136
	v_exp_f32_e32 v55, v55                                     // 000000005FE8: 7E6E4137
	buffer_load_dwordx4 a[100:103], v43, s[12:15], 0 offen     // 000000005FEC: E05C1000 8083642B
	v_add_f32_e64 v52, v52, 1.0                                // 000000005FF4: D1010034 0001E534
	v_add_f32_e64 v53, v53, 1.0                                // 000000005FFC: D1010035 0001E535
	v_add_f32_e64 v54, v54, 1.0                                // 000000006004: D1010036 0001E536
	v_add_f32_e64 v55, v55, 1.0                                // 00000000600C: D1010037 0001E537
	v_rcp_f32_e32 v52, v52                                     // 000000006014: 7E684534
	v_rcp_f32_e32 v53, v53                                     // 000000006018: 7E6A4535
	v_rcp_f32_e32 v54, v54                                     // 00000000601C: 7E6C4536
	v_rcp_f32_e32 v55, v55                                     // 000000006020: 7E6E4537
	v_mul_f32_e32 v176, v176, v52                              // 000000006024: 0B6069B0
	v_mul_f32_e32 v177, v177, v53                              // 000000006028: 0B626BB1
	v_mul_f32_e32 v178, v178, v54                              // 00000000602C: 0B646DB2
	v_mul_f32_e32 v179, v179, v55                              // 000000006030: 0B666FB3
	v_mul_f32_e32 v176, v176, v112                             // 000000006034: 0B60E1B0
	v_mul_f32_e32 v177, v177, v113                             // 000000006038: 0B62E3B1
	v_mul_f32_e32 v178, v178, v114                             // 00000000603C: 0B64E5B2
	v_mul_f32_e32 v179, v179, v115                             // 000000006040: 0B66E7B3
	buffer_load_dwordx4 a[104:107], v44, s[12:15], 0 offen     // 000000006044: E05C1000 8083682C
	v_mul_f32_e64 v52, -v180, s6                               // 00000000604C: D1050034 20000DB4
	v_mul_f32_e64 v53, -v181, s6                               // 000000006054: D1050035 20000DB5
	v_mul_f32_e64 v54, -v182, s6                               // 00000000605C: D1050036 20000DB6
	v_mul_f32_e64 v55, -v183, s6                               // 000000006064: D1050037 20000DB7
	v_exp_f32_e32 v52, v52                                     // 00000000606C: 7E684134
	v_exp_f32_e32 v53, v53                                     // 000000006070: 7E6A4135
	v_exp_f32_e32 v54, v54                                     // 000000006074: 7E6C4136
	v_exp_f32_e32 v55, v55                                     // 000000006078: 7E6E4137
	buffer_load_dwordx4 a[108:111], v45, s[12:15], 0 offen     // 00000000607C: E05C1000 80836C2D
	s_add_u32 s12, s78, s12                                    // 000000006084: 800C0C4E
	s_addc_u32 s13, 0, s13                                     // 000000006088: 820D0D80
	v_add_f32_e64 v52, v52, 1.0                                // 00000000608C: D1010034 0001E534
	v_add_f32_e64 v53, v53, 1.0                                // 000000006094: D1010035 0001E535
	v_add_f32_e64 v54, v54, 1.0                                // 00000000609C: D1010036 0001E536
	v_add_f32_e64 v55, v55, 1.0                                // 0000000060A4: D1010037 0001E537
	v_rcp_f32_e32 v52, v52                                     // 0000000060AC: 7E684534
	v_rcp_f32_e32 v53, v53                                     // 0000000060B0: 7E6A4535
	v_rcp_f32_e32 v54, v54                                     // 0000000060B4: 7E6C4536
	v_rcp_f32_e32 v55, v55                                     // 0000000060B8: 7E6E4537
	v_mul_f32_e32 v180, v180, v52                              // 0000000060BC: 0B6869B4
	v_mul_f32_e32 v181, v181, v53                              // 0000000060C0: 0B6A6BB5
	v_mul_f32_e32 v182, v182, v54                              // 0000000060C4: 0B6C6DB6
	v_mul_f32_e32 v183, v183, v55                              // 0000000060C8: 0B6E6FB7
	v_mul_f32_e32 v180, v180, v116                             // 0000000060CC: 0B68E9B4
	v_mul_f32_e32 v181, v181, v117                             // 0000000060D0: 0B6AEBB5
	v_mul_f32_e32 v182, v182, v118                             // 0000000060D4: 0B6CEDB6
	v_mul_f32_e32 v183, v183, v119                             // 0000000060D8: 0B6EEFB7
	s_waitcnt vmcnt(28)                                        // 0000000060DC: BF8C4F7C
	buffer_load_dwordx4 a[112:115], v42, s[12:15], 0 offen     // 0000000060E0: E05C1000 8083702A
	v_mul_f32_e64 v52, -v184, s6                               // 0000000060E8: D1050034 20000DB8
	v_mul_f32_e64 v53, -v185, s6                               // 0000000060F0: D1050035 20000DB9
	v_mul_f32_e64 v54, -v186, s6                               // 0000000060F8: D1050036 20000DBA
	v_mul_f32_e64 v55, -v187, s6                               // 000000006100: D1050037 20000DBB
	v_exp_f32_e32 v52, v52                                     // 000000006108: 7E684134
	v_exp_f32_e32 v53, v53                                     // 00000000610C: 7E6A4135
	v_exp_f32_e32 v54, v54                                     // 000000006110: 7E6C4136
	v_exp_f32_e32 v55, v55                                     // 000000006114: 7E6E4137
	buffer_load_dwordx4 a[116:119], v43, s[12:15], 0 offen     // 000000006118: E05C1000 8083742B
	v_add_f32_e64 v52, v52, 1.0                                // 000000006120: D1010034 0001E534
	v_add_f32_e64 v53, v53, 1.0                                // 000000006128: D1010035 0001E535
	v_add_f32_e64 v54, v54, 1.0                                // 000000006130: D1010036 0001E536
	v_add_f32_e64 v55, v55, 1.0                                // 000000006138: D1010037 0001E537
	v_rcp_f32_e32 v52, v52                                     // 000000006140: 7E684534
	v_rcp_f32_e32 v53, v53                                     // 000000006144: 7E6A4535
	v_rcp_f32_e32 v54, v54                                     // 000000006148: 7E6C4536
	v_rcp_f32_e32 v55, v55                                     // 00000000614C: 7E6E4537
	v_mul_f32_e32 v184, v184, v52                              // 000000006150: 0B7069B8
	v_mul_f32_e32 v185, v185, v53                              // 000000006154: 0B726BB9
	v_mul_f32_e32 v186, v186, v54                              // 000000006158: 0B746DBA
	v_mul_f32_e32 v187, v187, v55                              // 00000000615C: 0B766FBB
	v_mul_f32_e32 v184, v184, v120                             // 000000006160: 0B70F1B8
	v_mul_f32_e32 v185, v185, v121                             // 000000006164: 0B72F3B9
	v_mul_f32_e32 v186, v186, v122                             // 000000006168: 0B74F5BA
	v_mul_f32_e32 v187, v187, v123                             // 00000000616C: 0B76F7BB
	buffer_load_dwordx4 a[120:123], v44, s[12:15], 0 offen     // 000000006170: E05C1000 8083782C
	v_mul_f32_e64 v52, -v188, s6                               // 000000006178: D1050034 20000DBC
	v_mul_f32_e64 v53, -v189, s6                               // 000000006180: D1050035 20000DBD
	v_mul_f32_e64 v54, -v190, s6                               // 000000006188: D1050036 20000DBE
	v_mul_f32_e64 v55, -v191, s6                               // 000000006190: D1050037 20000DBF
	v_exp_f32_e32 v52, v52                                     // 000000006198: 7E684134
	v_exp_f32_e32 v53, v53                                     // 00000000619C: 7E6A4135
	v_exp_f32_e32 v54, v54                                     // 0000000061A0: 7E6C4136
	v_exp_f32_e32 v55, v55                                     // 0000000061A4: 7E6E4137
	buffer_load_dwordx4 a[124:127], v45, s[12:15], 0 offen     // 0000000061A8: E05C1000 80837C2D
	v_add_f32_e64 v52, v52, 1.0                                // 0000000061B0: D1010034 0001E534
	v_add_f32_e64 v53, v53, 1.0                                // 0000000061B8: D1010035 0001E535
	v_add_f32_e64 v54, v54, 1.0                                // 0000000061C0: D1010036 0001E536
	v_add_f32_e64 v55, v55, 1.0                                // 0000000061C8: D1010037 0001E537
	v_rcp_f32_e32 v52, v52                                     // 0000000061D0: 7E684534
	v_rcp_f32_e32 v53, v53                                     // 0000000061D4: 7E6A4535
	v_rcp_f32_e32 v54, v54                                     // 0000000061D8: 7E6C4536
	v_rcp_f32_e32 v55, v55                                     // 0000000061DC: 7E6E4537
	v_mul_f32_e32 v188, v188, v52                              // 0000000061E0: 0B7869BC
	v_mul_f32_e32 v189, v189, v53                              // 0000000061E4: 0B7A6BBD
	v_mul_f32_e32 v190, v190, v54                              // 0000000061E8: 0B7C6DBE
	v_mul_f32_e32 v191, v191, v55                              // 0000000061EC: 0B7E6FBF
	v_mul_f32_e32 v188, v188, v124                             // 0000000061F0: 0B78F9BC
	v_mul_f32_e32 v189, v189, v125                             // 0000000061F4: 0B7AFBBD
	v_mul_f32_e32 v190, v190, v126                             // 0000000061F8: 0B7CFDBE
	v_mul_f32_e32 v191, v191, v127                             // 0000000061FC: 0B7EFFBF
	v_lshlrev_b32_e32 v52, 2, v0                               // 000000006200: 24680082
	s_mul_i32 s60, s82, s71                                    // 000000006204: 923C4752
	v_add_u32_e64 v80, v52, s60                                // 000000006208: D1340050 00007934
	v_mov_b32_e32 v81, 0                                       // 000000006210: 7EA20280
	s_mul_i32 s60, s83, s71                                    // 000000006214: 923C4753
	v_add_u32_e64 v82, v52, s60                                // 000000006218: D1340052 00007934
	v_mov_b32_e32 v83, 0                                       // 000000006220: 7EA60280
	s_mul_i32 s60, s84, s71                                    // 000000006224: 923C4754
	v_add_u32_e64 v84, v52, s60                                // 000000006228: D1340054 00007934
	v_mov_b32_e32 v85, 0                                       // 000000006230: 7EAA0280
	s_mul_i32 s60, s85, s71                                    // 000000006234: 923C4755
	v_add_u32_e64 v86, v52, s60                                // 000000006238: D1340056 00007934
	v_mov_b32_e32 v87, 0                                       // 000000006240: 7EAE0280
	s_mul_i32 s60, s86, s71                                    // 000000006244: 923C4756
	v_add_u32_e64 v88, v52, s60                                // 000000006248: D1340058 00007934
	v_mov_b32_e32 v89, 0                                       // 000000006250: 7EB20280
	s_mul_i32 s60, s87, s71                                    // 000000006254: 923C4757
	v_add_u32_e64 v90, v52, s60                                // 000000006258: D134005A 00007934
	v_mov_b32_e32 v91, 0                                       // 000000006260: 7EB60280
	s_mul_i32 s60, s88, s71                                    // 000000006264: 923C4758
	v_add_u32_e64 v92, v52, s60                                // 000000006268: D134005C 00007934
	v_mov_b32_e32 v93, 0                                       // 000000006270: 7EBA0280
	s_mul_i32 s60, s89, s71                                    // 000000006274: 923C4759
	v_add_u32_e64 v94, v52, s60                                // 000000006278: D134005E 00007934
	v_mov_b32_e32 v95, 0                                       // 000000006280: 7EBE0280
	buffer_load_dword v12, v5, s[16:19], 0 offen               // 000000006284: E0501000 80040C05
	v_mov_b32_e32 v22, 0x358637bd                              // 00000000628C: 7E2C02FF 358637BD
	v_mov_b32_e32 v23, 0x358637bd                              // 000000006294: 7E2E02FF 358637BD
	v_max3_f32 v22, |v128|, |v129|, v22                        // 00000000629C: D1D30316 045B0380
	v_max3_f32 v22, |v130|, |v131|, v22                        // 0000000062A4: D1D30316 045B0782
	v_max3_f32 v23, |v132|, |v133|, v23                        // 0000000062AC: D1D30317 045F0B84
	v_max3_f32 v23, |v134|, |v135|, v23                        // 0000000062B4: D1D30317 045F0F86
	v_max3_f32 v22, |v136|, |v137|, v22                        // 0000000062BC: D1D30316 045B1388
	v_max3_f32 v22, |v138|, |v139|, v22                        // 0000000062C4: D1D30316 045B178A
	v_max3_f32 v23, |v140|, |v141|, v23                        // 0000000062CC: D1D30317 045F1B8C
	v_max3_f32 v23, |v142|, |v143|, v23                        // 0000000062D4: D1D30317 045F1F8E
	v_max3_f32 v22, |v144|, |v145|, v22                        // 0000000062DC: D1D30316 045B2390
	v_max3_f32 v22, |v146|, |v147|, v22                        // 0000000062E4: D1D30316 045B2792
	v_max3_f32 v23, |v148|, |v149|, v23                        // 0000000062EC: D1D30317 045F2B94
	v_max3_f32 v23, |v150|, |v151|, v23                        // 0000000062F4: D1D30317 045F2F96
	v_max3_f32 v22, |v152|, |v153|, v22                        // 0000000062FC: D1D30316 045B3398
	v_max3_f32 v22, |v154|, |v155|, v22                        // 000000006304: D1D30316 045B379A
	v_max3_f32 v23, |v156|, |v157|, v23                        // 00000000630C: D1D30317 045F3B9C
	v_max3_f32 v23, |v158|, |v159|, v23                        // 000000006314: D1D30317 045F3F9E
	v_max3_f32 v22, |v160|, |v161|, v22                        // 00000000631C: D1D30316 045B43A0
	v_max3_f32 v22, |v162|, |v163|, v22                        // 000000006324: D1D30316 045B47A2
	v_max3_f32 v23, |v164|, |v165|, v23                        // 00000000632C: D1D30317 045F4BA4
	v_max3_f32 v23, |v166|, |v167|, v23                        // 000000006334: D1D30317 045F4FA6
	v_max3_f32 v22, |v168|, |v169|, v22                        // 00000000633C: D1D30316 045B53A8
	v_max3_f32 v22, |v170|, |v171|, v22                        // 000000006344: D1D30316 045B57AA
	v_max3_f32 v23, |v172|, |v173|, v23                        // 00000000634C: D1D30317 045F5BAC
	v_max3_f32 v23, |v174|, |v175|, v23                        // 000000006354: D1D30317 045F5FAE
	v_max3_f32 v22, |v176|, |v177|, v22                        // 00000000635C: D1D30316 045B63B0
	v_max3_f32 v22, |v178|, |v179|, v22                        // 000000006364: D1D30316 045B67B2
	v_max3_f32 v23, |v180|, |v181|, v23                        // 00000000636C: D1D30317 045F6BB4
	v_max3_f32 v23, |v182|, |v183|, v23                        // 000000006374: D1D30317 045F6FB6
	v_max3_f32 v22, |v184|, |v185|, v22                        // 00000000637C: D1D30316 045B73B8
	v_max3_f32 v22, |v186|, |v187|, v22                        // 000000006384: D1D30316 045B77BA
	v_max3_f32 v23, |v188|, |v189|, v23                        // 00000000638C: D1D30317 045F7BBC
	v_max3_f32 v23, |v190|, |v191|, v23                        // 000000006394: D1D30317 045F7FBE
	v_lshlrev_b32_e32 v52, 3, v0                               // 00000000639C: 24680083
	s_mul_i32 s60, 0x200, s7                                   // 0000000063A0: 923C07FF 00000200
	v_add_u32_e32 v52, s60, v52                                // 0000000063A8: 6868683C
	ds_write_b64 v52, v[22:23] offset:16640                    // 0000000063AC: D89A4100 00001634
	s_waitcnt lgkmcnt(0)                                       // 0000000063B4: BF8CC07F
	s_barrier                                                  // 0000000063B8: BF8A0000
	v_and_b32_e32 v52, 15, v0                                  // 0000000063BC: 2668008F
	v_lshlrev_b32_e32 v52, 3, v52                              // 0000000063C0: 24686883
	ds_read_b64 v[96:97], v52 offset:16640                     // 0000000063C4: D8EC4100 60000034
	ds_read_b64 v[98:99], v52 offset:16768                     // 0000000063CC: D8EC4180 62000034
	ds_read_b64 v[100:101], v52 offset:16896                   // 0000000063D4: D8EC4200 64000034
	ds_read_b64 v[102:103], v52 offset:17024                   // 0000000063DC: D8EC4280 66000034
	ds_read_b64 v[104:105], v52 offset:17152                   // 0000000063E4: D8EC4300 68000034
	ds_read_b64 v[106:107], v52 offset:17280                   // 0000000063EC: D8EC4380 6A000034
	ds_read_b64 v[108:109], v52 offset:17408                   // 0000000063F4: D8EC4400 6C000034
	ds_read_b64 v[110:111], v52 offset:17536                   // 0000000063FC: D8EC4480 6E000034
	ds_read_b64 v[112:113], v52 offset:17664                   // 000000006404: D8EC4500 70000034
	ds_read_b64 v[114:115], v52 offset:17792                   // 00000000640C: D8EC4580 72000034
	ds_read_b64 v[116:117], v52 offset:17920                   // 000000006414: D8EC4600 74000034
	ds_read_b64 v[118:119], v52 offset:18048                   // 00000000641C: D8EC4680 76000034
	ds_read_b64 v[120:121], v52 offset:18176                   // 000000006424: D8EC4700 78000034
	ds_read_b64 v[122:123], v52 offset:18304                   // 00000000642C: D8EC4780 7A000034
	ds_read_b64 v[124:125], v52 offset:18432                   // 000000006434: D8EC4800 7C000034
	ds_read_b64 v[126:127], v52 offset:18560                   // 00000000643C: D8EC4880 7E000034
	s_waitcnt lgkmcnt(0)                                       // 000000006444: BF8CC07F
	v_max3_f32 v22, |v96|, |v98|, v22                          // 000000006448: D1D30316 045AC560
	v_max3_f32 v23, |v97|, |v99|, v23                          // 000000006450: D1D30317 045EC761
	v_max3_f32 v22, |v100|, |v102|, v22                        // 000000006458: D1D30316 045ACD64
	v_max3_f32 v23, |v101|, |v103|, v23                        // 000000006460: D1D30317 045ECF65
	v_max3_f32 v22, |v104|, |v106|, v22                        // 000000006468: D1D30316 045AD568
	v_max3_f32 v23, |v105|, |v107|, v23                        // 000000006470: D1D30317 045ED769
	v_max3_f32 v22, |v108|, |v110|, v22                        // 000000006478: D1D30316 045ADD6C
	v_max3_f32 v23, |v109|, |v111|, v23                        // 000000006480: D1D30317 045EDF6D
	v_max3_f32 v22, |v112|, |v114|, v22                        // 000000006488: D1D30316 045AE570
	v_max3_f32 v23, |v113|, |v115|, v23                        // 000000006490: D1D30317 045EE771
	v_max3_f32 v22, |v116|, |v118|, v22                        // 000000006498: D1D30316 045AED74
	v_max3_f32 v23, |v117|, |v119|, v23                        // 0000000064A0: D1D30317 045EEF75
	v_max3_f32 v22, |v120|, |v122|, v22                        // 0000000064A8: D1D30316 045AF578
	v_max3_f32 v23, |v121|, |v123|, v23                        // 0000000064B0: D1D30317 045EF779
	v_max3_f32 v22, |v124|, |v126|, v22                        // 0000000064B8: D1D30316 045AFD7C
	v_max3_f32 v23, |v125|, |v127|, v23                        // 0000000064C0: D1D30317 045EFF7D
	v_rcp_f32_e32 v22, v22                                     // 0000000064C8: 7E2C4516
	v_rcp_f32_e32 v23, v23                                     // 0000000064CC: 7E2E4517
	v_mul_f32_e32 v22, 0x42fe0000, v22                         // 0000000064D0: 0A2C2CFF 42FE0000
	v_mul_f32_e32 v23, 0x42fe0000, v23                         // 0000000064D8: 0A2E2EFF 42FE0000
	v_mul_f32_e32 v128, v22, v128                              // 0000000064E0: 0B010116
	v_mul_f32_e32 v129, v22, v129                              // 0000000064E4: 0B030316
	v_mul_f32_e32 v130, v22, v130                              // 0000000064E8: 0B050516
	v_mul_f32_e32 v131, v22, v131                              // 0000000064EC: 0B070716
	v_cvt_i32_f32_e32 v128, v128                               // 0000000064F0: 7F001180
	v_cvt_i32_f32_e32 v129, v129                               // 0000000064F4: 7F021181
	v_cvt_i32_f32_e32 v130, v130                               // 0000000064F8: 7F041182
	v_cvt_i32_f32_e32 v131, v131                               // 0000000064FC: 7F061183
	v_perm_b32 v128, v129, v128, s53                           // 000000006500: D1ED0080 00D70181
	v_perm_b32 v128, v130, v128, s54                           // 000000006508: D1ED0080 00DB0182
	v_perm_b32 v128, v131, v128, s55                           // 000000006510: D1ED0080 00DF0183
	v_mul_f32_e32 v132, v23, v132                              // 000000006518: 0B090917
	v_mul_f32_e32 v133, v23, v133                              // 00000000651C: 0B0B0B17
	v_mul_f32_e32 v134, v23, v134                              // 000000006520: 0B0D0D17
	v_mul_f32_e32 v135, v23, v135                              // 000000006524: 0B0F0F17
	v_cvt_i32_f32_e32 v132, v132                               // 000000006528: 7F081184
	v_cvt_i32_f32_e32 v133, v133                               // 00000000652C: 7F0A1185
	v_cvt_i32_f32_e32 v134, v134                               // 000000006530: 7F0C1186
	v_cvt_i32_f32_e32 v135, v135                               // 000000006534: 7F0E1187
	v_perm_b32 v129, v133, v132, s53                           // 000000006538: D1ED0081 00D70985
	v_perm_b32 v129, v134, v129, s54                           // 000000006540: D1ED0081 00DB0386
	v_perm_b32 v129, v135, v129, s55                           // 000000006548: D1ED0081 00DF0387
	v_mul_f32_e32 v136, v22, v136                              // 000000006550: 0B111116
	v_mul_f32_e32 v137, v22, v137                              // 000000006554: 0B131316
	v_mul_f32_e32 v138, v22, v138                              // 000000006558: 0B151516
	v_mul_f32_e32 v139, v22, v139                              // 00000000655C: 0B171716
	v_cvt_i32_f32_e32 v136, v136                               // 000000006560: 7F101188
	v_cvt_i32_f32_e32 v137, v137                               // 000000006564: 7F121189
	v_cvt_i32_f32_e32 v138, v138                               // 000000006568: 7F14118A
	v_cvt_i32_f32_e32 v139, v139                               // 00000000656C: 7F16118B
	v_perm_b32 v130, v137, v136, s53                           // 000000006570: D1ED0082 00D71189
	v_perm_b32 v130, v138, v130, s54                           // 000000006578: D1ED0082 00DB058A
	v_perm_b32 v130, v139, v130, s55                           // 000000006580: D1ED0082 00DF058B
	v_mul_f32_e32 v140, v23, v140                              // 000000006588: 0B191917
	v_mul_f32_e32 v141, v23, v141                              // 00000000658C: 0B1B1B17
	v_mul_f32_e32 v142, v23, v142                              // 000000006590: 0B1D1D17
	v_mul_f32_e32 v143, v23, v143                              // 000000006594: 0B1F1F17
	v_cvt_i32_f32_e32 v140, v140                               // 000000006598: 7F18118C
	v_cvt_i32_f32_e32 v141, v141                               // 00000000659C: 7F1A118D
	v_cvt_i32_f32_e32 v142, v142                               // 0000000065A0: 7F1C118E
	v_cvt_i32_f32_e32 v143, v143                               // 0000000065A4: 7F1E118F
	v_perm_b32 v131, v141, v140, s53                           // 0000000065A8: D1ED0083 00D7198D
	v_perm_b32 v131, v142, v131, s54                           // 0000000065B0: D1ED0083 00DB078E
	v_perm_b32 v131, v143, v131, s55                           // 0000000065B8: D1ED0083 00DF078F
	v_mul_f32_e32 v144, v22, v144                              // 0000000065C0: 0B212116
	v_mul_f32_e32 v145, v22, v145                              // 0000000065C4: 0B232316
	v_mul_f32_e32 v146, v22, v146                              // 0000000065C8: 0B252516
	v_mul_f32_e32 v147, v22, v147                              // 0000000065CC: 0B272716
	v_cvt_i32_f32_e32 v144, v144                               // 0000000065D0: 7F201190
	v_cvt_i32_f32_e32 v145, v145                               // 0000000065D4: 7F221191
	v_cvt_i32_f32_e32 v146, v146                               // 0000000065D8: 7F241192
	v_cvt_i32_f32_e32 v147, v147                               // 0000000065DC: 7F261193
	v_perm_b32 v132, v145, v144, s53                           // 0000000065E0: D1ED0084 00D72191
	v_perm_b32 v132, v146, v132, s54                           // 0000000065E8: D1ED0084 00DB0992
	v_perm_b32 v132, v147, v132, s55                           // 0000000065F0: D1ED0084 00DF0993
	v_mul_f32_e32 v148, v23, v148                              // 0000000065F8: 0B292917
	v_mul_f32_e32 v149, v23, v149                              // 0000000065FC: 0B2B2B17
	v_mul_f32_e32 v150, v23, v150                              // 000000006600: 0B2D2D17
	v_mul_f32_e32 v151, v23, v151                              // 000000006604: 0B2F2F17
	v_cvt_i32_f32_e32 v148, v148                               // 000000006608: 7F281194
	v_cvt_i32_f32_e32 v149, v149                               // 00000000660C: 7F2A1195
	v_cvt_i32_f32_e32 v150, v150                               // 000000006610: 7F2C1196
	v_cvt_i32_f32_e32 v151, v151                               // 000000006614: 7F2E1197
	v_perm_b32 v133, v149, v148, s53                           // 000000006618: D1ED0085 00D72995
	v_perm_b32 v133, v150, v133, s54                           // 000000006620: D1ED0085 00DB0B96
	v_perm_b32 v133, v151, v133, s55                           // 000000006628: D1ED0085 00DF0B97
	v_mul_f32_e32 v152, v22, v152                              // 000000006630: 0B313116
	v_mul_f32_e32 v153, v22, v153                              // 000000006634: 0B333316
	v_mul_f32_e32 v154, v22, v154                              // 000000006638: 0B353516
	v_mul_f32_e32 v155, v22, v155                              // 00000000663C: 0B373716
	v_cvt_i32_f32_e32 v152, v152                               // 000000006640: 7F301198
	v_cvt_i32_f32_e32 v153, v153                               // 000000006644: 7F321199
	v_cvt_i32_f32_e32 v154, v154                               // 000000006648: 7F34119A
	v_cvt_i32_f32_e32 v155, v155                               // 00000000664C: 7F36119B
	v_perm_b32 v134, v153, v152, s53                           // 000000006650: D1ED0086 00D73199
	v_perm_b32 v134, v154, v134, s54                           // 000000006658: D1ED0086 00DB0D9A
	v_perm_b32 v134, v155, v134, s55                           // 000000006660: D1ED0086 00DF0D9B
	v_mul_f32_e32 v156, v23, v156                              // 000000006668: 0B393917
	v_mul_f32_e32 v157, v23, v157                              // 00000000666C: 0B3B3B17
	v_mul_f32_e32 v158, v23, v158                              // 000000006670: 0B3D3D17
	v_mul_f32_e32 v159, v23, v159                              // 000000006674: 0B3F3F17
	v_cvt_i32_f32_e32 v156, v156                               // 000000006678: 7F38119C
	v_cvt_i32_f32_e32 v157, v157                               // 00000000667C: 7F3A119D
	v_cvt_i32_f32_e32 v158, v158                               // 000000006680: 7F3C119E
	v_cvt_i32_f32_e32 v159, v159                               // 000000006684: 7F3E119F
	v_perm_b32 v135, v157, v156, s53                           // 000000006688: D1ED0087 00D7399D
	v_perm_b32 v135, v158, v135, s54                           // 000000006690: D1ED0087 00DB0F9E
	v_perm_b32 v135, v159, v135, s55                           // 000000006698: D1ED0087 00DF0F9F
	v_mul_f32_e32 v160, v22, v160                              // 0000000066A0: 0B414116
	v_mul_f32_e32 v161, v22, v161                              // 0000000066A4: 0B434316
	v_mul_f32_e32 v162, v22, v162                              // 0000000066A8: 0B454516
	v_mul_f32_e32 v163, v22, v163                              // 0000000066AC: 0B474716
	v_cvt_i32_f32_e32 v160, v160                               // 0000000066B0: 7F4011A0
	v_cvt_i32_f32_e32 v161, v161                               // 0000000066B4: 7F4211A1
	v_cvt_i32_f32_e32 v162, v162                               // 0000000066B8: 7F4411A2
	v_cvt_i32_f32_e32 v163, v163                               // 0000000066BC: 7F4611A3
	v_perm_b32 v136, v161, v160, s53                           // 0000000066C0: D1ED0088 00D741A1
	v_perm_b32 v136, v162, v136, s54                           // 0000000066C8: D1ED0088 00DB11A2
	v_perm_b32 v136, v163, v136, s55                           // 0000000066D0: D1ED0088 00DF11A3
	v_mul_f32_e32 v164, v23, v164                              // 0000000066D8: 0B494917
	v_mul_f32_e32 v165, v23, v165                              // 0000000066DC: 0B4B4B17
	v_mul_f32_e32 v166, v23, v166                              // 0000000066E0: 0B4D4D17
	v_mul_f32_e32 v167, v23, v167                              // 0000000066E4: 0B4F4F17
	v_cvt_i32_f32_e32 v164, v164                               // 0000000066E8: 7F4811A4
	v_cvt_i32_f32_e32 v165, v165                               // 0000000066EC: 7F4A11A5
	v_cvt_i32_f32_e32 v166, v166                               // 0000000066F0: 7F4C11A6
	v_cvt_i32_f32_e32 v167, v167                               // 0000000066F4: 7F4E11A7
	v_perm_b32 v137, v165, v164, s53                           // 0000000066F8: D1ED0089 00D749A5
	v_perm_b32 v137, v166, v137, s54                           // 000000006700: D1ED0089 00DB13A6
	v_perm_b32 v137, v167, v137, s55                           // 000000006708: D1ED0089 00DF13A7
	v_mul_f32_e32 v168, v22, v168                              // 000000006710: 0B515116
	v_mul_f32_e32 v169, v22, v169                              // 000000006714: 0B535316
	v_mul_f32_e32 v170, v22, v170                              // 000000006718: 0B555516
	v_mul_f32_e32 v171, v22, v171                              // 00000000671C: 0B575716
	v_cvt_i32_f32_e32 v168, v168                               // 000000006720: 7F5011A8
	v_cvt_i32_f32_e32 v169, v169                               // 000000006724: 7F5211A9
	v_cvt_i32_f32_e32 v170, v170                               // 000000006728: 7F5411AA
	v_cvt_i32_f32_e32 v171, v171                               // 00000000672C: 7F5611AB
	v_perm_b32 v138, v169, v168, s53                           // 000000006730: D1ED008A 00D751A9
	v_perm_b32 v138, v170, v138, s54                           // 000000006738: D1ED008A 00DB15AA
	v_perm_b32 v138, v171, v138, s55                           // 000000006740: D1ED008A 00DF15AB
	v_mul_f32_e32 v172, v23, v172                              // 000000006748: 0B595917
	v_mul_f32_e32 v173, v23, v173                              // 00000000674C: 0B5B5B17
	v_mul_f32_e32 v174, v23, v174                              // 000000006750: 0B5D5D17
	v_mul_f32_e32 v175, v23, v175                              // 000000006754: 0B5F5F17
	v_cvt_i32_f32_e32 v172, v172                               // 000000006758: 7F5811AC
	v_cvt_i32_f32_e32 v173, v173                               // 00000000675C: 7F5A11AD
	v_cvt_i32_f32_e32 v174, v174                               // 000000006760: 7F5C11AE
	v_cvt_i32_f32_e32 v175, v175                               // 000000006764: 7F5E11AF
	v_perm_b32 v139, v173, v172, s53                           // 000000006768: D1ED008B 00D759AD
	v_perm_b32 v139, v174, v139, s54                           // 000000006770: D1ED008B 00DB17AE
	v_perm_b32 v139, v175, v139, s55                           // 000000006778: D1ED008B 00DF17AF
	v_mul_f32_e32 v176, v22, v176                              // 000000006780: 0B616116
	v_mul_f32_e32 v177, v22, v177                              // 000000006784: 0B636316
	v_mul_f32_e32 v178, v22, v178                              // 000000006788: 0B656516
	v_mul_f32_e32 v179, v22, v179                              // 00000000678C: 0B676716
	v_cvt_i32_f32_e32 v176, v176                               // 000000006790: 7F6011B0
	v_cvt_i32_f32_e32 v177, v177                               // 000000006794: 7F6211B1
	v_cvt_i32_f32_e32 v178, v178                               // 000000006798: 7F6411B2
	v_cvt_i32_f32_e32 v179, v179                               // 00000000679C: 7F6611B3
	v_perm_b32 v140, v177, v176, s53                           // 0000000067A0: D1ED008C 00D761B1
	v_perm_b32 v140, v178, v140, s54                           // 0000000067A8: D1ED008C 00DB19B2
	v_perm_b32 v140, v179, v140, s55                           // 0000000067B0: D1ED008C 00DF19B3
	v_mul_f32_e32 v180, v23, v180                              // 0000000067B8: 0B696917
	v_mul_f32_e32 v181, v23, v181                              // 0000000067BC: 0B6B6B17
	v_mul_f32_e32 v182, v23, v182                              // 0000000067C0: 0B6D6D17
	v_mul_f32_e32 v183, v23, v183                              // 0000000067C4: 0B6F6F17
	v_cvt_i32_f32_e32 v180, v180                               // 0000000067C8: 7F6811B4
	v_cvt_i32_f32_e32 v181, v181                               // 0000000067CC: 7F6A11B5
	v_cvt_i32_f32_e32 v182, v182                               // 0000000067D0: 7F6C11B6
	v_cvt_i32_f32_e32 v183, v183                               // 0000000067D4: 7F6E11B7
	v_perm_b32 v141, v181, v180, s53                           // 0000000067D8: D1ED008D 00D769B5
	v_perm_b32 v141, v182, v141, s54                           // 0000000067E0: D1ED008D 00DB1BB6
	v_perm_b32 v141, v183, v141, s55                           // 0000000067E8: D1ED008D 00DF1BB7
	v_mul_f32_e32 v184, v22, v184                              // 0000000067F0: 0B717116
	v_mul_f32_e32 v185, v22, v185                              // 0000000067F4: 0B737316
	v_mul_f32_e32 v186, v22, v186                              // 0000000067F8: 0B757516
	v_mul_f32_e32 v187, v22, v187                              // 0000000067FC: 0B777716
	v_cvt_i32_f32_e32 v184, v184                               // 000000006800: 7F7011B8
	v_cvt_i32_f32_e32 v185, v185                               // 000000006804: 7F7211B9
	v_cvt_i32_f32_e32 v186, v186                               // 000000006808: 7F7411BA
	v_cvt_i32_f32_e32 v187, v187                               // 00000000680C: 7F7611BB
	v_perm_b32 v142, v185, v184, s53                           // 000000006810: D1ED008E 00D771B9
	v_perm_b32 v142, v186, v142, s54                           // 000000006818: D1ED008E 00DB1DBA
	v_perm_b32 v142, v187, v142, s55                           // 000000006820: D1ED008E 00DF1DBB
	v_mul_f32_e32 v188, v23, v188                              // 000000006828: 0B797917
	v_mul_f32_e32 v189, v23, v189                              // 00000000682C: 0B7B7B17
	v_mul_f32_e32 v190, v23, v190                              // 000000006830: 0B7D7D17
	v_mul_f32_e32 v191, v23, v191                              // 000000006834: 0B7F7F17
	v_cvt_i32_f32_e32 v188, v188                               // 000000006838: 7F7811BC
	v_cvt_i32_f32_e32 v189, v189                               // 00000000683C: 7F7A11BD
	v_cvt_i32_f32_e32 v190, v190                               // 000000006840: 7F7C11BE
	v_cvt_i32_f32_e32 v191, v191                               // 000000006844: 7F7E11BF
	v_perm_b32 v143, v189, v188, s53                           // 000000006848: D1ED008F 00D779BD
	v_perm_b32 v143, v190, v143, s54                           // 000000006850: D1ED008F 00DB1FBE
	v_perm_b32 v143, v191, v143, s55                           // 000000006858: D1ED008F 00DF1FBF
	v_rcp_f32_e32 v24, v22                                     // 000000006860: 7E304516
	v_rcp_f32_e32 v25, v23                                     // 000000006864: 7E324517
	v_lshrrev_b32_e32 v52, 5, v0                               // 000000006868: 20680085
	v_lshlrev_b32_e32 v53, 5, v52                              // 00000000686C: 246A6885
	v_and_b32_e32 v52, 31, v0                                  // 000000006870: 2668009F
	v_lshrrev_b32_e32 v54, 4, v52                              // 000000006874: 206C6884
	v_add_u32_e32 v53, v54, v53                                // 000000006878: 686A6B36
	v_and_b32_e32 v52, 15, v0                                  // 00000000687C: 2668008F
	v_lshlrev_b32_e32 v52, 1, v52                              // 000000006880: 24686881
	v_add_u32_e32 v53, v52, v53                                // 000000006884: 686A6B34
	v_lshlrev_b32_e32 v52, 2, v53                              // 000000006888: 24686A82
	s_mul_i32 s60, 0x100, s7                                   // 00000000688C: 923C07FF 00000100
	v_add_u32_e64 v52, v52, s60                                // 000000006894: D1340034 00007934
	ds_write_b32 v52, v128 offset:18688                        // 00000000689C: D81A4900 00008034
	ds_write_b32 v52, v129 offset:26880                        // 0000000068A4: D81A6900 00008134
	ds_write_b32 v52, v130 offset:19712                        // 0000000068AC: D81A4D00 00008234
	ds_write_b32 v52, v131 offset:27904                        // 0000000068B4: D81A6D00 00008334
	ds_write_b32 v52, v132 offset:20736                        // 0000000068BC: D81A5100 00008434
	ds_write_b32 v52, v133 offset:28928                        // 0000000068C4: D81A7100 00008534
	ds_write_b32 v52, v134 offset:21760                        // 0000000068CC: D81A5500 00008634
	ds_write_b32 v52, v135 offset:29952                        // 0000000068D4: D81A7500 00008734
	ds_write_b32 v52, v136 offset:22784                        // 0000000068DC: D81A5900 00008834
	ds_write_b32 v52, v137 offset:30976                        // 0000000068E4: D81A7900 00008934
	ds_write_b32 v52, v138 offset:23808                        // 0000000068EC: D81A5D00 00008A34
	ds_write_b32 v52, v139 offset:32000                        // 0000000068F4: D81A7D00 00008B34
	ds_write_b32 v52, v140 offset:24832                        // 0000000068FC: D81A6100 00008C34
	ds_write_b32 v52, v141 offset:33024                        // 000000006904: D81A8100 00008D34
	ds_write_b32 v52, v142 offset:25856                        // 00000000690C: D81A6500 00008E34
	ds_write_b32 v52, v143 offset:34048                        // 000000006914: D81A8500 00008F34
	s_waitcnt lgkmcnt(0)                                       // 00000000691C: BF8CC07F
	s_barrier                                                  // 000000006920: BF8A0000
	v_lshrrev_b32_e32 v52, 4, v0                               // 000000006924: 20680084
	v_lshlrev_b32_e32 v53, 6, v52                              // 000000006928: 246A6886
	v_and_b32_e32 v52, 15, v0                                  // 00000000692C: 2668008F
	v_lshlrev_b32_e32 v52, 1, v52                              // 000000006930: 24686881
	v_add_u32_e32 v53, v52, v53                                // 000000006934: 686A6B34
	v_lshlrev_b32_e32 v52, 2, v53                              // 000000006938: 24686A82
	ds_read_b64 v[128:129], v52 offset:18688                   // 00000000693C: D8EC4900 80000034
	ds_read_b64 v[130:131], v52 offset:18816                   // 000000006944: D8EC4980 82000034
	ds_read_b64 v[132:133], v52 offset:19712                   // 00000000694C: D8EC4D00 84000034
	ds_read_b64 v[134:135], v52 offset:19840                   // 000000006954: D8EC4D80 86000034
	ds_read_b64 v[136:137], v52 offset:20736                   // 00000000695C: D8EC5100 88000034
	ds_read_b64 v[138:139], v52 offset:20864                   // 000000006964: D8EC5180 8A000034
	ds_read_b64 v[140:141], v52 offset:21760                   // 00000000696C: D8EC5500 8C000034
	ds_read_b64 v[142:143], v52 offset:21888                   // 000000006974: D8EC5580 8E000034
	ds_read_b64 v[144:145], v52 offset:22784                   // 00000000697C: D8EC5900 90000034
	ds_read_b64 v[146:147], v52 offset:22912                   // 000000006984: D8EC5980 92000034
	ds_read_b64 v[148:149], v52 offset:23808                   // 00000000698C: D8EC5D00 94000034
	ds_read_b64 v[150:151], v52 offset:23936                   // 000000006994: D8EC5D80 96000034
	ds_read_b64 v[152:153], v52 offset:24832                   // 00000000699C: D8EC6100 98000034
	ds_read_b64 v[154:155], v52 offset:24960                   // 0000000069A4: D8EC6180 9A000034
	ds_read_b64 v[156:157], v52 offset:25856                   // 0000000069AC: D8EC6500 9C000034
	ds_read_b64 v[158:159], v52 offset:25984                   // 0000000069B4: D8EC6580 9E000034
	ds_read_b64 v[160:161], v52 offset:26880                   // 0000000069BC: D8EC6900 A0000034
	ds_read_b64 v[162:163], v52 offset:27008                   // 0000000069C4: D8EC6980 A2000034
	ds_read_b64 v[164:165], v52 offset:27904                   // 0000000069CC: D8EC6D00 A4000034
	ds_read_b64 v[166:167], v52 offset:28032                   // 0000000069D4: D8EC6D80 A6000034
	ds_read_b64 v[168:169], v52 offset:28928                   // 0000000069DC: D8EC7100 A8000034
	ds_read_b64 v[170:171], v52 offset:29056                   // 0000000069E4: D8EC7180 AA000034
	ds_read_b64 v[172:173], v52 offset:29952                   // 0000000069EC: D8EC7500 AC000034
	ds_read_b64 v[174:175], v52 offset:30080                   // 0000000069F4: D8EC7580 AE000034
	ds_read_b64 v[176:177], v52 offset:30976                   // 0000000069FC: D8EC7900 B0000034
	ds_read_b64 v[178:179], v52 offset:31104                   // 000000006A04: D8EC7980 B2000034
	ds_read_b64 v[180:181], v52 offset:32000                   // 000000006A0C: D8EC7D00 B4000034
	ds_read_b64 v[182:183], v52 offset:32128                   // 000000006A14: D8EC7D80 B6000034
	ds_read_b64 v[184:185], v52 offset:33024                   // 000000006A1C: D8EC8100 B8000034
	ds_read_b64 v[186:187], v52 offset:33152                   // 000000006A24: D8EC8180 BA000034
	ds_read_b64 v[188:189], v52 offset:34048                   // 000000006A2C: D8EC8500 BC000034
	ds_read_b64 v[190:191], v52 offset:34176                   // 000000006A34: D8EC8580 BE000034
	s_add_u32 s12, s56, s12                                    // 000000006A3C: 800C0C38
	s_addc_u32 s13, 0, s13                                     // 000000006A40: 820D0D80
	s_add_u32 s16, s79, s16                                    // 000000006A44: 8010104F
	s_addc_u32 s17, 0, s17                                     // 000000006A48: 82111180
	s_mov_b32 s80, 0                                           // 000000006A4C: BED00080
	s_waitcnt vmcnt(0) expcnt(0) lgkmcnt(0)                    // 000000006A50: BF8C0000

0000000000006a54 <label_0F15>:
	s_waitcnt vmcnt(45)                                        // 000000006A54: BF8C8F7D
	s_barrier                                                  // 000000006A58: BF8A0000
	v_mfma_i32_16x16x32_i8 v[192:195], a[0:1], v[128:129], 0   // 000000006A5C: D3D700C0 0A030100
	v_mfma_i32_16x16x32_i8 v[192:195], a[2:3], v[130:131], v[192:195]// 000000006A64: D3D700C0 0F030502
	buffer_load_dwordx4 a[128:131], v42, s[12:15], 0 offen     // 000000006A6C: E05C1000 8083802A
	v_mfma_i32_16x16x32_i8 v[196:199], a[0:1], v[160:161], 0   // 000000006A74: D3D700C4 0A034100
	v_mfma_i32_16x16x32_i8 v[196:199], a[2:3], v[162:163], v[196:199]// 000000006A7C: D3D700C4 0F134502
	v_mfma_i32_16x16x32_i8 v[200:203], a[4:5], v[128:129], 0   // 000000006A84: D3D700C8 0A030104
	v_mfma_i32_16x16x32_i8 v[200:203], a[6:7], v[130:131], v[200:203]// 000000006A8C: D3D700C8 0F230506
	buffer_load_dwordx4 a[132:135], v43, s[12:15], 0 offen     // 000000006A94: E05C1000 8083842B
	v_mfma_i32_16x16x32_i8 v[204:207], a[4:5], v[160:161], 0   // 000000006A9C: D3D700CC 0A034104
	v_mfma_i32_16x16x32_i8 v[204:207], a[6:7], v[162:163], v[204:207]// 000000006AA4: D3D700CC 0F334506
	v_mfma_i32_16x16x32_i8 v[208:211], a[8:9], v[128:129], 0   // 000000006AAC: D3D700D0 0A030108
	v_mfma_i32_16x16x32_i8 v[208:211], a[10:11], v[130:131], v[208:211]// 000000006AB4: D3D700D0 0F43050A
	buffer_load_dwordx4 a[136:139], v44, s[12:15], 0 offen     // 000000006ABC: E05C1000 8083882C
	v_mfma_i32_16x16x32_i8 v[212:215], a[8:9], v[160:161], 0   // 000000006AC4: D3D700D4 0A034108
	v_mfma_i32_16x16x32_i8 v[212:215], a[10:11], v[162:163], v[212:215]// 000000006ACC: D3D700D4 0F53450A
	v_mfma_i32_16x16x32_i8 v[216:219], a[12:13], v[128:129], 0 // 000000006AD4: D3D700D8 0A03010C
	v_mfma_i32_16x16x32_i8 v[216:219], a[14:15], v[130:131], v[216:219]// 000000006ADC: D3D700D8 0F63050E
	buffer_load_dwordx4 a[140:143], v45, s[12:15], 0 offen     // 000000006AE4: E05C1000 80838C2D
	s_add_u32 s12, s78, s12                                    // 000000006AEC: 800C0C4E
	s_addc_u32 s13, 0, s13                                     // 000000006AF0: 820D0D80
	v_mfma_i32_16x16x32_i8 v[220:223], a[12:13], v[160:161], 0 // 000000006AF4: D3D700DC 0A03410C
	v_mfma_i32_16x16x32_i8 v[220:223], a[14:15], v[162:163], v[220:223]// 000000006AFC: D3D700DC 0F73450E
	s_waitcnt vmcnt(45)                                        // 000000006B04: BF8C8F7D
	v_mfma_i32_16x16x32_i8 v[192:195], a[16:17], v[132:133], v[192:195]// 000000006B08: D3D700C0 0F030910
	v_mfma_i32_16x16x32_i8 v[192:195], a[18:19], v[134:135], v[192:195]// 000000006B10: D3D700C0 0F030D12
	buffer_load_dwordx4 a[144:147], v42, s[12:15], 0 offen     // 000000006B18: E05C1000 8083902A
	v_mfma_i32_16x16x32_i8 v[196:199], a[16:17], v[164:165], v[196:199]// 000000006B20: D3D700C4 0F134910
	v_mfma_i32_16x16x32_i8 v[196:199], a[18:19], v[166:167], v[196:199]// 000000006B28: D3D700C4 0F134D12
	v_mfma_i32_16x16x32_i8 v[200:203], a[20:21], v[132:133], v[200:203]// 000000006B30: D3D700C8 0F230914
	v_mfma_i32_16x16x32_i8 v[200:203], a[22:23], v[134:135], v[200:203]// 000000006B38: D3D700C8 0F230D16
	buffer_load_dwordx4 a[148:151], v43, s[12:15], 0 offen     // 000000006B40: E05C1000 8083942B
	v_mfma_i32_16x16x32_i8 v[204:207], a[20:21], v[164:165], v[204:207]// 000000006B48: D3D700CC 0F334914
	v_mfma_i32_16x16x32_i8 v[204:207], a[22:23], v[166:167], v[204:207]// 000000006B50: D3D700CC 0F334D16
	v_mfma_i32_16x16x32_i8 v[208:211], a[24:25], v[132:133], v[208:211]// 000000006B58: D3D700D0 0F430918
	v_mfma_i32_16x16x32_i8 v[208:211], a[26:27], v[134:135], v[208:211]// 000000006B60: D3D700D0 0F430D1A
	buffer_load_dwordx4 a[152:155], v44, s[12:15], 0 offen     // 000000006B68: E05C1000 8083982C
	v_mfma_i32_16x16x32_i8 v[212:215], a[24:25], v[164:165], v[212:215]// 000000006B70: D3D700D4 0F534918
	v_mfma_i32_16x16x32_i8 v[212:215], a[26:27], v[166:167], v[212:215]// 000000006B78: D3D700D4 0F534D1A
	v_mfma_i32_16x16x32_i8 v[216:219], a[28:29], v[132:133], v[216:219]// 000000006B80: D3D700D8 0F63091C
	v_mfma_i32_16x16x32_i8 v[216:219], a[30:31], v[134:135], v[216:219]// 000000006B88: D3D700D8 0F630D1E
	buffer_load_dwordx4 a[156:159], v45, s[12:15], 0 offen     // 000000006B90: E05C1000 80839C2D
	s_add_u32 s12, s78, s12                                    // 000000006B98: 800C0C4E
	s_addc_u32 s13, 0, s13                                     // 000000006B9C: 820D0D80
	v_mfma_i32_16x16x32_i8 v[220:223], a[28:29], v[164:165], v[220:223]// 000000006BA0: D3D700DC 0F73491C
	v_mfma_i32_16x16x32_i8 v[220:223], a[30:31], v[166:167], v[220:223]// 000000006BA8: D3D700DC 0F734D1E
	s_waitcnt vmcnt(45)                                        // 000000006BB0: BF8C8F7D
	v_mfma_i32_16x16x32_i8 v[192:195], a[32:33], v[136:137], v[192:195]// 000000006BB4: D3D700C0 0F031120
	v_mfma_i32_16x16x32_i8 v[192:195], a[34:35], v[138:139], v[192:195]// 000000006BBC: D3D700C0 0F031522
	buffer_load_dwordx4 a[160:163], v42, s[12:15], 0 offen     // 000000006BC4: E05C1000 8083A02A
	v_mfma_i32_16x16x32_i8 v[196:199], a[32:33], v[168:169], v[196:199]// 000000006BCC: D3D700C4 0F135120
	v_mfma_i32_16x16x32_i8 v[196:199], a[34:35], v[170:171], v[196:199]// 000000006BD4: D3D700C4 0F135522
	v_mfma_i32_16x16x32_i8 v[200:203], a[36:37], v[136:137], v[200:203]// 000000006BDC: D3D700C8 0F231124
	v_mfma_i32_16x16x32_i8 v[200:203], a[38:39], v[138:139], v[200:203]// 000000006BE4: D3D700C8 0F231526
	buffer_load_dwordx4 a[164:167], v43, s[12:15], 0 offen     // 000000006BEC: E05C1000 8083A42B
	v_mfma_i32_16x16x32_i8 v[204:207], a[36:37], v[168:169], v[204:207]// 000000006BF4: D3D700CC 0F335124
	v_mfma_i32_16x16x32_i8 v[204:207], a[38:39], v[170:171], v[204:207]// 000000006BFC: D3D700CC 0F335526
	v_mfma_i32_16x16x32_i8 v[208:211], a[40:41], v[136:137], v[208:211]// 000000006C04: D3D700D0 0F431128
	v_mfma_i32_16x16x32_i8 v[208:211], a[42:43], v[138:139], v[208:211]// 000000006C0C: D3D700D0 0F43152A
	buffer_load_dwordx4 a[168:171], v44, s[12:15], 0 offen     // 000000006C14: E05C1000 8083A82C
	v_mfma_i32_16x16x32_i8 v[212:215], a[40:41], v[168:169], v[212:215]// 000000006C1C: D3D700D4 0F535128
	v_mfma_i32_16x16x32_i8 v[212:215], a[42:43], v[170:171], v[212:215]// 000000006C24: D3D700D4 0F53552A
	v_mfma_i32_16x16x32_i8 v[216:219], a[44:45], v[136:137], v[216:219]// 000000006C2C: D3D700D8 0F63112C
	v_mfma_i32_16x16x32_i8 v[216:219], a[46:47], v[138:139], v[216:219]// 000000006C34: D3D700D8 0F63152E
	buffer_load_dwordx4 a[172:175], v45, s[12:15], 0 offen     // 000000006C3C: E05C1000 8083AC2D
	s_add_u32 s12, s78, s12                                    // 000000006C44: 800C0C4E
	s_addc_u32 s13, 0, s13                                     // 000000006C48: 820D0D80
	v_mfma_i32_16x16x32_i8 v[220:223], a[44:45], v[168:169], v[220:223]// 000000006C4C: D3D700DC 0F73512C
	v_mfma_i32_16x16x32_i8 v[220:223], a[46:47], v[170:171], v[220:223]// 000000006C54: D3D700DC 0F73552E
	s_waitcnt vmcnt(45)                                        // 000000006C5C: BF8C8F7D
	v_mfma_i32_16x16x32_i8 v[192:195], a[48:49], v[140:141], v[192:195]// 000000006C60: D3D700C0 0F031930
	v_mfma_i32_16x16x32_i8 v[192:195], a[50:51], v[142:143], v[192:195]// 000000006C68: D3D700C0 0F031D32
	buffer_load_dwordx4 a[176:179], v42, s[12:15], 0 offen     // 000000006C70: E05C1000 8083B02A
	v_mfma_i32_16x16x32_i8 v[196:199], a[48:49], v[172:173], v[196:199]// 000000006C78: D3D700C4 0F135930
	v_mfma_i32_16x16x32_i8 v[196:199], a[50:51], v[174:175], v[196:199]// 000000006C80: D3D700C4 0F135D32
	v_mfma_i32_16x16x32_i8 v[200:203], a[52:53], v[140:141], v[200:203]// 000000006C88: D3D700C8 0F231934
	v_mfma_i32_16x16x32_i8 v[200:203], a[54:55], v[142:143], v[200:203]// 000000006C90: D3D700C8 0F231D36
	buffer_load_dwordx4 a[180:183], v43, s[12:15], 0 offen     // 000000006C98: E05C1000 8083B42B
	v_mfma_i32_16x16x32_i8 v[204:207], a[52:53], v[172:173], v[204:207]// 000000006CA0: D3D700CC 0F335934
	v_mfma_i32_16x16x32_i8 v[204:207], a[54:55], v[174:175], v[204:207]// 000000006CA8: D3D700CC 0F335D36
	v_mfma_i32_16x16x32_i8 v[208:211], a[56:57], v[140:141], v[208:211]// 000000006CB0: D3D700D0 0F431938
	v_mfma_i32_16x16x32_i8 v[208:211], a[58:59], v[142:143], v[208:211]// 000000006CB8: D3D700D0 0F431D3A
	buffer_load_dwordx4 a[184:187], v44, s[12:15], 0 offen     // 000000006CC0: E05C1000 8083B82C
	v_mfma_i32_16x16x32_i8 v[212:215], a[56:57], v[172:173], v[212:215]// 000000006CC8: D3D700D4 0F535938
	v_mfma_i32_16x16x32_i8 v[212:215], a[58:59], v[174:175], v[212:215]// 000000006CD0: D3D700D4 0F535D3A
	v_mfma_i32_16x16x32_i8 v[216:219], a[60:61], v[140:141], v[216:219]// 000000006CD8: D3D700D8 0F63193C
	v_mfma_i32_16x16x32_i8 v[216:219], a[62:63], v[142:143], v[216:219]// 000000006CE0: D3D700D8 0F631D3E
	buffer_load_dwordx4 a[188:191], v45, s[12:15], 0 offen     // 000000006CE8: E05C1000 8083BC2D
	s_add_u32 s12, s78, s12                                    // 000000006CF0: 800C0C4E
	s_addc_u32 s13, 0, s13                                     // 000000006CF4: 820D0D80
	v_mfma_i32_16x16x32_i8 v[220:223], a[60:61], v[172:173], v[220:223]// 000000006CF8: D3D700DC 0F73593C
	v_mfma_i32_16x16x32_i8 v[220:223], a[62:63], v[174:175], v[220:223]// 000000006D00: D3D700DC 0F735D3E
	s_waitcnt vmcnt(45)                                        // 000000006D08: BF8C8F7D
	v_mfma_i32_16x16x32_i8 v[192:195], a[64:65], v[144:145], v[192:195]// 000000006D0C: D3D700C0 0F032140
	v_mfma_i32_16x16x32_i8 v[192:195], a[66:67], v[146:147], v[192:195]// 000000006D14: D3D700C0 0F032542
	buffer_load_dwordx4 a[192:195], v42, s[12:15], 0 offen     // 000000006D1C: E05C1000 8083C02A
	v_mfma_i32_16x16x32_i8 v[196:199], a[64:65], v[176:177], v[196:199]// 000000006D24: D3D700C4 0F136140
	v_mfma_i32_16x16x32_i8 v[196:199], a[66:67], v[178:179], v[196:199]// 000000006D2C: D3D700C4 0F136542
	v_mfma_i32_16x16x32_i8 v[200:203], a[68:69], v[144:145], v[200:203]// 000000006D34: D3D700C8 0F232144
	v_mfma_i32_16x16x32_i8 v[200:203], a[70:71], v[146:147], v[200:203]// 000000006D3C: D3D700C8 0F232546
	buffer_load_dwordx4 a[196:199], v43, s[12:15], 0 offen     // 000000006D44: E05C1000 8083C42B
	v_mfma_i32_16x16x32_i8 v[204:207], a[68:69], v[176:177], v[204:207]// 000000006D4C: D3D700CC 0F336144
	v_mfma_i32_16x16x32_i8 v[204:207], a[70:71], v[178:179], v[204:207]// 000000006D54: D3D700CC 0F336546
	v_mfma_i32_16x16x32_i8 v[208:211], a[72:73], v[144:145], v[208:211]// 000000006D5C: D3D700D0 0F432148
	v_mfma_i32_16x16x32_i8 v[208:211], a[74:75], v[146:147], v[208:211]// 000000006D64: D3D700D0 0F43254A
	buffer_load_dwordx4 a[200:203], v44, s[12:15], 0 offen     // 000000006D6C: E05C1000 8083C82C
	v_mfma_i32_16x16x32_i8 v[212:215], a[72:73], v[176:177], v[212:215]// 000000006D74: D3D700D4 0F536148
	v_mfma_i32_16x16x32_i8 v[212:215], a[74:75], v[178:179], v[212:215]// 000000006D7C: D3D700D4 0F53654A
	v_mfma_i32_16x16x32_i8 v[216:219], a[76:77], v[144:145], v[216:219]// 000000006D84: D3D700D8 0F63214C
	v_mfma_i32_16x16x32_i8 v[216:219], a[78:79], v[146:147], v[216:219]// 000000006D8C: D3D700D8 0F63254E
	buffer_load_dwordx4 a[204:207], v45, s[12:15], 0 offen     // 000000006D94: E05C1000 8083CC2D
	s_add_u32 s12, s78, s12                                    // 000000006D9C: 800C0C4E
	s_addc_u32 s13, 0, s13                                     // 000000006DA0: 820D0D80
	v_mfma_i32_16x16x32_i8 v[220:223], a[76:77], v[176:177], v[220:223]// 000000006DA4: D3D700DC 0F73614C
	v_mfma_i32_16x16x32_i8 v[220:223], a[78:79], v[178:179], v[220:223]// 000000006DAC: D3D700DC 0F73654E
	s_waitcnt vmcnt(45)                                        // 000000006DB4: BF8C8F7D
	v_mfma_i32_16x16x32_i8 v[192:195], a[80:81], v[148:149], v[192:195]// 000000006DB8: D3D700C0 0F032950
	v_mfma_i32_16x16x32_i8 v[192:195], a[82:83], v[150:151], v[192:195]// 000000006DC0: D3D700C0 0F032D52
	buffer_load_dwordx4 a[208:211], v42, s[12:15], 0 offen     // 000000006DC8: E05C1000 8083D02A
	v_mfma_i32_16x16x32_i8 v[196:199], a[80:81], v[180:181], v[196:199]// 000000006DD0: D3D700C4 0F136950
	v_mfma_i32_16x16x32_i8 v[196:199], a[82:83], v[182:183], v[196:199]// 000000006DD8: D3D700C4 0F136D52
	v_mfma_i32_16x16x32_i8 v[200:203], a[84:85], v[148:149], v[200:203]// 000000006DE0: D3D700C8 0F232954
	v_mfma_i32_16x16x32_i8 v[200:203], a[86:87], v[150:151], v[200:203]// 000000006DE8: D3D700C8 0F232D56
	buffer_load_dwordx4 a[212:215], v43, s[12:15], 0 offen     // 000000006DF0: E05C1000 8083D42B
	v_mfma_i32_16x16x32_i8 v[204:207], a[84:85], v[180:181], v[204:207]// 000000006DF8: D3D700CC 0F336954
	v_mfma_i32_16x16x32_i8 v[204:207], a[86:87], v[182:183], v[204:207]// 000000006E00: D3D700CC 0F336D56
	v_mfma_i32_16x16x32_i8 v[208:211], a[88:89], v[148:149], v[208:211]// 000000006E08: D3D700D0 0F432958
	v_mfma_i32_16x16x32_i8 v[208:211], a[90:91], v[150:151], v[208:211]// 000000006E10: D3D700D0 0F432D5A
	buffer_load_dwordx4 a[216:219], v44, s[12:15], 0 offen     // 000000006E18: E05C1000 8083D82C
	v_mfma_i32_16x16x32_i8 v[212:215], a[88:89], v[180:181], v[212:215]// 000000006E20: D3D700D4 0F536958
	v_mfma_i32_16x16x32_i8 v[212:215], a[90:91], v[182:183], v[212:215]// 000000006E28: D3D700D4 0F536D5A
	v_mfma_i32_16x16x32_i8 v[216:219], a[92:93], v[148:149], v[216:219]// 000000006E30: D3D700D8 0F63295C
	v_mfma_i32_16x16x32_i8 v[216:219], a[94:95], v[150:151], v[216:219]// 000000006E38: D3D700D8 0F632D5E
	buffer_load_dwordx4 a[220:223], v45, s[12:15], 0 offen     // 000000006E40: E05C1000 8083DC2D
	s_add_u32 s12, s78, s12                                    // 000000006E48: 800C0C4E
	s_addc_u32 s13, 0, s13                                     // 000000006E4C: 820D0D80
	v_mfma_i32_16x16x32_i8 v[220:223], a[92:93], v[180:181], v[220:223]// 000000006E50: D3D700DC 0F73695C
	v_mfma_i32_16x16x32_i8 v[220:223], a[94:95], v[182:183], v[220:223]// 000000006E58: D3D700DC 0F736D5E
	s_waitcnt vmcnt(45)                                        // 000000006E60: BF8C8F7D
	v_mfma_i32_16x16x32_i8 v[192:195], a[96:97], v[152:153], v[192:195]// 000000006E64: D3D700C0 0F033160
	v_mfma_i32_16x16x32_i8 v[192:195], a[98:99], v[154:155], v[192:195]// 000000006E6C: D3D700C0 0F033562
	buffer_load_dwordx4 a[224:227], v42, s[12:15], 0 offen     // 000000006E74: E05C1000 8083E02A
	v_mfma_i32_16x16x32_i8 v[196:199], a[96:97], v[184:185], v[196:199]// 000000006E7C: D3D700C4 0F137160
	v_mfma_i32_16x16x32_i8 v[196:199], a[98:99], v[186:187], v[196:199]// 000000006E84: D3D700C4 0F137562
	v_mfma_i32_16x16x32_i8 v[200:203], a[100:101], v[152:153], v[200:203]// 000000006E8C: D3D700C8 0F233164
	v_mfma_i32_16x16x32_i8 v[200:203], a[102:103], v[154:155], v[200:203]// 000000006E94: D3D700C8 0F233566
	buffer_load_dwordx4 a[228:231], v43, s[12:15], 0 offen     // 000000006E9C: E05C1000 8083E42B
	v_mfma_i32_16x16x32_i8 v[204:207], a[100:101], v[184:185], v[204:207]// 000000006EA4: D3D700CC 0F337164
	v_mfma_i32_16x16x32_i8 v[204:207], a[102:103], v[186:187], v[204:207]// 000000006EAC: D3D700CC 0F337566
	v_mfma_i32_16x16x32_i8 v[208:211], a[104:105], v[152:153], v[208:211]// 000000006EB4: D3D700D0 0F433168
	v_mfma_i32_16x16x32_i8 v[208:211], a[106:107], v[154:155], v[208:211]// 000000006EBC: D3D700D0 0F43356A
	buffer_load_dwordx4 a[232:235], v44, s[12:15], 0 offen     // 000000006EC4: E05C1000 8083E82C
	v_mfma_i32_16x16x32_i8 v[212:215], a[104:105], v[184:185], v[212:215]// 000000006ECC: D3D700D4 0F537168
	v_mfma_i32_16x16x32_i8 v[212:215], a[106:107], v[186:187], v[212:215]// 000000006ED4: D3D700D4 0F53756A
	v_mfma_i32_16x16x32_i8 v[216:219], a[108:109], v[152:153], v[216:219]// 000000006EDC: D3D700D8 0F63316C
	v_mfma_i32_16x16x32_i8 v[216:219], a[110:111], v[154:155], v[216:219]// 000000006EE4: D3D700D8 0F63356E
	buffer_load_dwordx4 a[236:239], v45, s[12:15], 0 offen     // 000000006EEC: E05C1000 8083EC2D
	s_add_u32 s12, s78, s12                                    // 000000006EF4: 800C0C4E
	s_addc_u32 s13, 0, s13                                     // 000000006EF8: 820D0D80
	v_mfma_i32_16x16x32_i8 v[220:223], a[108:109], v[184:185], v[220:223]// 000000006EFC: D3D700DC 0F73716C
	v_mfma_i32_16x16x32_i8 v[220:223], a[110:111], v[186:187], v[220:223]// 000000006F04: D3D700DC 0F73756E
	s_waitcnt vmcnt(44)                                        // 000000006F0C: BF8C8F7C
	v_mfma_i32_16x16x32_i8 v[192:195], a[112:113], v[156:157], v[192:195]// 000000006F10: D3D700C0 0F033970
	v_mfma_i32_16x16x32_i8 v[192:195], a[114:115], v[158:159], v[192:195]// 000000006F18: D3D700C0 0F033D72
	buffer_load_dwordx4 a[240:243], v42, s[12:15], 0 offen     // 000000006F20: E05C1000 8083F02A
	v_mfma_i32_16x16x32_i8 v[196:199], a[112:113], v[188:189], v[196:199]// 000000006F28: D3D700C4 0F137970
	v_mfma_i32_16x16x32_i8 v[196:199], a[114:115], v[190:191], v[196:199]// 000000006F30: D3D700C4 0F137D72
	buffer_load_dword v13, v5, s[16:19], 0 offen               // 000000006F38: E0501000 80040D05
	v_mfma_i32_16x16x32_i8 v[200:203], a[116:117], v[156:157], v[200:203]// 000000006F40: D3D700C8 0F233974
	v_mfma_i32_16x16x32_i8 v[200:203], a[118:119], v[158:159], v[200:203]// 000000006F48: D3D700C8 0F233D76
	buffer_load_dwordx4 a[244:247], v43, s[12:15], 0 offen     // 000000006F50: E05C1000 8083F42B
	v_mfma_i32_16x16x32_i8 v[204:207], a[116:117], v[188:189], v[204:207]// 000000006F58: D3D700CC 0F337974
	v_mfma_i32_16x16x32_i8 v[204:207], a[118:119], v[190:191], v[204:207]// 000000006F60: D3D700CC 0F337D76
	v_mfma_i32_16x16x32_i8 v[208:211], a[120:121], v[156:157], v[208:211]// 000000006F68: D3D700D0 0F433978
	v_mfma_i32_16x16x32_i8 v[208:211], a[122:123], v[158:159], v[208:211]// 000000006F70: D3D700D0 0F433D7A
	buffer_load_dwordx4 a[248:251], v44, s[12:15], 0 offen     // 000000006F78: E05C1000 8083F82C
	v_mfma_i32_16x16x32_i8 v[212:215], a[120:121], v[188:189], v[212:215]// 000000006F80: D3D700D4 0F537978
	v_mfma_i32_16x16x32_i8 v[212:215], a[122:123], v[190:191], v[212:215]// 000000006F88: D3D700D4 0F537D7A
	v_mfma_i32_16x16x32_i8 v[216:219], a[124:125], v[156:157], v[216:219]// 000000006F90: D3D700D8 0F63397C
	v_mfma_i32_16x16x32_i8 v[216:219], a[126:127], v[158:159], v[216:219]// 000000006F98: D3D700D8 0F633D7E
	buffer_load_dwordx4 a[252:255], v45, s[12:15], 0 offen     // 000000006FA0: E05C1000 8083FC2D
	v_mfma_i32_16x16x32_i8 v[220:223], a[124:125], v[188:189], v[220:223]// 000000006FA8: D3D700DC 0F73797C
	v_mfma_i32_16x16x32_i8 v[220:223], a[126:127], v[190:191], v[220:223]// 000000006FB0: D3D700DC 0F737D7E
	s_add_u32 s60, 0x200, s80                                  // 000000006FB8: 803C50FF 00000200
	s_cmp_lt_u32 s60, s81                                      // 000000006FC0: BF0A513C
	s_cselect_b32 s56, s56, 0                                  // 000000006FC4: 85388038
	s_cselect_b32 s78, s78, 0                                  // 000000006FC8: 854E804E
	s_cselect_b32 s79, s79, 0                                  // 000000006FCC: 854F804F
	s_add_u32 s12, s56, s12                                    // 000000006FD0: 800C0C38
	s_addc_u32 s13, 0, s13                                     // 000000006FD4: 820D0D80
	s_add_u32 s16, s79, s16                                    // 000000006FD8: 8010104F
	s_addc_u32 s17, 0, s17                                     // 000000006FDC: 82111180
	v_cvt_f32_i32_e32 v192, v192                               // 000000006FE0: 7F800BC0
	v_cvt_f32_i32_e32 v193, v193                               // 000000006FE4: 7F820BC1
	v_cvt_f32_i32_e32 v194, v194                               // 000000006FE8: 7F840BC2
	v_cvt_f32_i32_e32 v195, v195                               // 000000006FEC: 7F860BC3
	v_mul_f32_e32 v192, v24, v192                              // 000000006FF0: 0B818118
	v_mul_f32_e32 v193, v24, v193                              // 000000006FF4: 0B838318
	v_mul_f32_e32 v194, v24, v194                              // 000000006FF8: 0B858518
	v_mul_f32_e32 v195, v24, v195                              // 000000006FFC: 0B878718
	v_mul_f32_dpp v192, v12, v192 row_newbcast:0 row_mask:0xf bank_mask:0xf// 000000007000: 0B8180FA FF01500C
	v_mul_f32_dpp v193, v12, v193 row_newbcast:1 row_mask:0xf bank_mask:0xf// 000000007008: 0B8382FA FF01510C
	v_mul_f32_dpp v194, v12, v194 row_newbcast:2 row_mask:0xf bank_mask:0xf// 000000007010: 0B8584FA FF01520C
	v_mul_f32_dpp v195, v12, v195 row_newbcast:3 row_mask:0xf bank_mask:0xf// 000000007018: 0B8786FA FF01530C
	v_mul_f32_e32 v192, v20, v192                              // 000000007020: 0B818114
	v_mul_f32_e32 v193, v20, v193                              // 000000007024: 0B838314
	v_mul_f32_e32 v194, v20, v194                              // 000000007028: 0B858514
	v_mul_f32_e32 v195, v20, v195                              // 00000000702C: 0B878714
	v_cvt_f32_i32_e32 v196, v196                               // 000000007030: 7F880BC4
	v_cvt_f32_i32_e32 v197, v197                               // 000000007034: 7F8A0BC5
	v_cvt_f32_i32_e32 v198, v198                               // 000000007038: 7F8C0BC6
	v_cvt_f32_i32_e32 v199, v199                               // 00000000703C: 7F8E0BC7
	v_mul_f32_e32 v196, v25, v196                              // 000000007040: 0B898919
	v_mul_f32_e32 v197, v25, v197                              // 000000007044: 0B8B8B19
	v_mul_f32_e32 v198, v25, v198                              // 000000007048: 0B8D8D19
	v_mul_f32_e32 v199, v25, v199                              // 00000000704C: 0B8F8F19
	v_mul_f32_dpp v196, v12, v196 row_newbcast:0 row_mask:0xf bank_mask:0xf// 000000007050: 0B8988FA FF01500C
	v_mul_f32_dpp v197, v12, v197 row_newbcast:1 row_mask:0xf bank_mask:0xf// 000000007058: 0B8B8AFA FF01510C
	v_mul_f32_dpp v198, v12, v198 row_newbcast:2 row_mask:0xf bank_mask:0xf// 000000007060: 0B8D8CFA FF01520C
	v_mul_f32_dpp v199, v12, v199 row_newbcast:3 row_mask:0xf bank_mask:0xf// 000000007068: 0B8F8EFA FF01530C
	v_mul_f32_e32 v196, v21, v196                              // 000000007070: 0B898915
	v_mul_f32_e32 v197, v21, v197                              // 000000007074: 0B8B8B15
	v_mul_f32_e32 v198, v21, v198                              // 000000007078: 0B8D8D15
	v_mul_f32_e32 v199, v21, v199                              // 00000000707C: 0B8F8F15
	v_cvt_f32_i32_e32 v200, v200                               // 000000007080: 7F900BC8
	v_cvt_f32_i32_e32 v201, v201                               // 000000007084: 7F920BC9
	v_cvt_f32_i32_e32 v202, v202                               // 000000007088: 7F940BCA
	v_cvt_f32_i32_e32 v203, v203                               // 00000000708C: 7F960BCB
	v_mul_f32_e32 v200, v24, v200                              // 000000007090: 0B919118
	v_mul_f32_e32 v201, v24, v201                              // 000000007094: 0B939318
	v_mul_f32_e32 v202, v24, v202                              // 000000007098: 0B959518
	v_mul_f32_e32 v203, v24, v203                              // 00000000709C: 0B979718
	v_mul_f32_dpp v200, v12, v200 row_newbcast:4 row_mask:0xf bank_mask:0xf// 0000000070A0: 0B9190FA FF01540C
	v_mul_f32_dpp v201, v12, v201 row_newbcast:5 row_mask:0xf bank_mask:0xf// 0000000070A8: 0B9392FA FF01550C
	v_mul_f32_dpp v202, v12, v202 row_newbcast:6 row_mask:0xf bank_mask:0xf// 0000000070B0: 0B9594FA FF01560C
	v_mul_f32_dpp v203, v12, v203 row_newbcast:7 row_mask:0xf bank_mask:0xf// 0000000070B8: 0B9796FA FF01570C
	v_mul_f32_e32 v200, v20, v200                              // 0000000070C0: 0B919114
	v_mul_f32_e32 v201, v20, v201                              // 0000000070C4: 0B939314
	v_mul_f32_e32 v202, v20, v202                              // 0000000070C8: 0B959514
	v_mul_f32_e32 v203, v20, v203                              // 0000000070CC: 0B979714
	v_cvt_f32_i32_e32 v204, v204                               // 0000000070D0: 7F980BCC
	v_cvt_f32_i32_e32 v205, v205                               // 0000000070D4: 7F9A0BCD
	v_cvt_f32_i32_e32 v206, v206                               // 0000000070D8: 7F9C0BCE
	v_cvt_f32_i32_e32 v207, v207                               // 0000000070DC: 7F9E0BCF
	v_mul_f32_e32 v204, v25, v204                              // 0000000070E0: 0B999919
	v_mul_f32_e32 v205, v25, v205                              // 0000000070E4: 0B9B9B19
	v_mul_f32_e32 v206, v25, v206                              // 0000000070E8: 0B9D9D19
	v_mul_f32_e32 v207, v25, v207                              // 0000000070EC: 0B9F9F19
	v_mul_f32_dpp v204, v12, v204 row_newbcast:4 row_mask:0xf bank_mask:0xf// 0000000070F0: 0B9998FA FF01540C
	v_mul_f32_dpp v205, v12, v205 row_newbcast:5 row_mask:0xf bank_mask:0xf// 0000000070F8: 0B9B9AFA FF01550C
	v_mul_f32_dpp v206, v12, v206 row_newbcast:6 row_mask:0xf bank_mask:0xf// 000000007100: 0B9D9CFA FF01560C
	v_mul_f32_dpp v207, v12, v207 row_newbcast:7 row_mask:0xf bank_mask:0xf// 000000007108: 0B9F9EFA FF01570C
	v_mul_f32_e32 v204, v21, v204                              // 000000007110: 0B999915
	v_mul_f32_e32 v205, v21, v205                              // 000000007114: 0B9B9B15
	v_mul_f32_e32 v206, v21, v206                              // 000000007118: 0B9D9D15
	v_mul_f32_e32 v207, v21, v207                              // 00000000711C: 0B9F9F15
	v_cvt_f32_i32_e32 v208, v208                               // 000000007120: 7FA00BD0
	v_cvt_f32_i32_e32 v209, v209                               // 000000007124: 7FA20BD1
	v_cvt_f32_i32_e32 v210, v210                               // 000000007128: 7FA40BD2
	v_cvt_f32_i32_e32 v211, v211                               // 00000000712C: 7FA60BD3
	v_mul_f32_e32 v208, v24, v208                              // 000000007130: 0BA1A118
	v_mul_f32_e32 v209, v24, v209                              // 000000007134: 0BA3A318
	v_mul_f32_e32 v210, v24, v210                              // 000000007138: 0BA5A518
	v_mul_f32_e32 v211, v24, v211                              // 00000000713C: 0BA7A718
	v_mul_f32_dpp v208, v12, v208 row_newbcast:8 row_mask:0xf bank_mask:0xf// 000000007140: 0BA1A0FA FF01580C
	v_mul_f32_dpp v209, v12, v209 row_newbcast:9 row_mask:0xf bank_mask:0xf// 000000007148: 0BA3A2FA FF01590C
	v_mul_f32_dpp v210, v12, v210 row_newbcast:10 row_mask:0xf bank_mask:0xf// 000000007150: 0BA5A4FA FF015A0C
	v_mul_f32_dpp v211, v12, v211 row_newbcast:11 row_mask:0xf bank_mask:0xf// 000000007158: 0BA7A6FA FF015B0C
	v_mul_f32_e32 v208, v20, v208                              // 000000007160: 0BA1A114
	v_mul_f32_e32 v209, v20, v209                              // 000000007164: 0BA3A314
	v_mul_f32_e32 v210, v20, v210                              // 000000007168: 0BA5A514
	v_mul_f32_e32 v211, v20, v211                              // 00000000716C: 0BA7A714
	v_cvt_f32_i32_e32 v212, v212                               // 000000007170: 7FA80BD4
	v_cvt_f32_i32_e32 v213, v213                               // 000000007174: 7FAA0BD5
	v_cvt_f32_i32_e32 v214, v214                               // 000000007178: 7FAC0BD6
	v_cvt_f32_i32_e32 v215, v215                               // 00000000717C: 7FAE0BD7
	v_mul_f32_e32 v212, v25, v212                              // 000000007180: 0BA9A919
	v_mul_f32_e32 v213, v25, v213                              // 000000007184: 0BABAB19
	v_mul_f32_e32 v214, v25, v214                              // 000000007188: 0BADAD19
	v_mul_f32_e32 v215, v25, v215                              // 00000000718C: 0BAFAF19
	v_mul_f32_dpp v212, v12, v212 row_newbcast:8 row_mask:0xf bank_mask:0xf// 000000007190: 0BA9A8FA FF01580C
	v_mul_f32_dpp v213, v12, v213 row_newbcast:9 row_mask:0xf bank_mask:0xf// 000000007198: 0BABAAFA FF01590C
	v_mul_f32_dpp v214, v12, v214 row_newbcast:10 row_mask:0xf bank_mask:0xf// 0000000071A0: 0BADACFA FF015A0C
	v_mul_f32_dpp v215, v12, v215 row_newbcast:11 row_mask:0xf bank_mask:0xf// 0000000071A8: 0BAFAEFA FF015B0C
	v_mul_f32_e32 v212, v21, v212                              // 0000000071B0: 0BA9A915
	v_mul_f32_e32 v213, v21, v213                              // 0000000071B4: 0BABAB15
	v_mul_f32_e32 v214, v21, v214                              // 0000000071B8: 0BADAD15
	v_mul_f32_e32 v215, v21, v215                              // 0000000071BC: 0BAFAF15
	v_cvt_f32_i32_e32 v216, v216                               // 0000000071C0: 7FB00BD8
	v_cvt_f32_i32_e32 v217, v217                               // 0000000071C4: 7FB20BD9
	v_cvt_f32_i32_e32 v218, v218                               // 0000000071C8: 7FB40BDA
	v_cvt_f32_i32_e32 v219, v219                               // 0000000071CC: 7FB60BDB
	v_mul_f32_e32 v216, v24, v216                              // 0000000071D0: 0BB1B118
	v_mul_f32_e32 v217, v24, v217                              // 0000000071D4: 0BB3B318
	v_mul_f32_e32 v218, v24, v218                              // 0000000071D8: 0BB5B518
	v_mul_f32_e32 v219, v24, v219                              // 0000000071DC: 0BB7B718
	v_mul_f32_dpp v216, v12, v216 row_newbcast:12 row_mask:0xf bank_mask:0xf// 0000000071E0: 0BB1B0FA FF015C0C
	v_mul_f32_dpp v217, v12, v217 row_newbcast:13 row_mask:0xf bank_mask:0xf// 0000000071E8: 0BB3B2FA FF015D0C
	v_mul_f32_dpp v218, v12, v218 row_newbcast:14 row_mask:0xf bank_mask:0xf// 0000000071F0: 0BB5B4FA FF015E0C
	v_mul_f32_dpp v219, v12, v219 row_newbcast:15 row_mask:0xf bank_mask:0xf// 0000000071F8: 0BB7B6FA FF015F0C
	v_mul_f32_e32 v216, v20, v216                              // 000000007200: 0BB1B114
	v_mul_f32_e32 v217, v20, v217                              // 000000007204: 0BB3B314
	v_mul_f32_e32 v218, v20, v218                              // 000000007208: 0BB5B514
	v_mul_f32_e32 v219, v20, v219                              // 00000000720C: 0BB7B714
	v_cvt_f32_i32_e32 v220, v220                               // 000000007210: 7FB80BDC
	v_cvt_f32_i32_e32 v221, v221                               // 000000007214: 7FBA0BDD
	v_cvt_f32_i32_e32 v222, v222                               // 000000007218: 7FBC0BDE
	v_cvt_f32_i32_e32 v223, v223                               // 00000000721C: 7FBE0BDF
	v_mul_f32_e32 v220, v25, v220                              // 000000007220: 0BB9B919
	v_mul_f32_e32 v221, v25, v221                              // 000000007224: 0BBBBB19
	v_mul_f32_e32 v222, v25, v222                              // 000000007228: 0BBDBD19
	v_mul_f32_e32 v223, v25, v223                              // 00000000722C: 0BBFBF19
	v_mul_f32_dpp v220, v12, v220 row_newbcast:12 row_mask:0xf bank_mask:0xf// 000000007230: 0BB9B8FA FF015C0C
	v_mul_f32_dpp v221, v12, v221 row_newbcast:13 row_mask:0xf bank_mask:0xf// 000000007238: 0BBBBAFA FF015D0C
	v_mul_f32_dpp v222, v12, v222 row_newbcast:14 row_mask:0xf bank_mask:0xf// 000000007240: 0BBDBCFA FF015E0C
	v_mul_f32_dpp v223, v12, v223 row_newbcast:15 row_mask:0xf bank_mask:0xf// 000000007248: 0BBFBEFA FF015F0C
	v_mul_f32_e32 v220, v21, v220                              // 000000007250: 0BB9B915
	v_mul_f32_e32 v221, v21, v221                              // 000000007254: 0BBBBB15
	v_mul_f32_e32 v222, v21, v222                              // 000000007258: 0BBDBD15
	v_mul_f32_e32 v223, v21, v223                              // 00000000725C: 0BBFBF15
	v_cmp_u_f32_e64 s[48:49], v192, v192                       // 000000007260: D0480030 000381C0
	v_add3_u32 v46, v192, v49, 1                               // 000000007268: D1FF002E 020663C0
	v_cndmask_b32_e64 v52, v46, v48, s[48:49]                  // 000000007270: D1000034 00C2612E
	v_cmp_u_f32_e64 s[48:49], v193, v193                       // 000000007278: D0480030 000383C1
	v_add3_u32 v46, v193, v49, 1                               // 000000007280: D1FF002E 020663C1
	v_cndmask_b32_e64 v53, v46, v48, s[48:49]                  // 000000007288: D1000035 00C2612E
	v_perm_b32 v192, v53, v52, s52                             // 000000007290: D1ED00C0 00D26935
	v_cmp_u_f32_e64 s[48:49], v194, v194                       // 000000007298: D0480030 000385C2
	v_add3_u32 v46, v194, v49, 1                               // 0000000072A0: D1FF002E 020663C2
	v_cndmask_b32_e64 v52, v46, v48, s[48:49]                  // 0000000072A8: D1000034 00C2612E
	v_cmp_u_f32_e64 s[48:49], v195, v195                       // 0000000072B0: D0480030 000387C3
	v_add3_u32 v46, v195, v49, 1                               // 0000000072B8: D1FF002E 020663C3
	v_cndmask_b32_e64 v53, v46, v48, s[48:49]                  // 0000000072C0: D1000035 00C2612E
	v_perm_b32 v193, v53, v52, s52                             // 0000000072C8: D1ED00C1 00D26935
	v_cmp_u_f32_e64 s[48:49], v196, v196                       // 0000000072D0: D0480030 000389C4
	v_add3_u32 v46, v196, v49, 1                               // 0000000072D8: D1FF002E 020663C4
	v_cndmask_b32_e64 v52, v46, v48, s[48:49]                  // 0000000072E0: D1000034 00C2612E
	v_cmp_u_f32_e64 s[48:49], v197, v197                       // 0000000072E8: D0480030 00038BC5
	v_add3_u32 v46, v197, v49, 1                               // 0000000072F0: D1FF002E 020663C5
	v_cndmask_b32_e64 v53, v46, v48, s[48:49]                  // 0000000072F8: D1000035 00C2612E
	v_perm_b32 v194, v53, v52, s52                             // 000000007300: D1ED00C2 00D26935
	v_cmp_u_f32_e64 s[48:49], v198, v198                       // 000000007308: D0480030 00038DC6
	v_add3_u32 v46, v198, v49, 1                               // 000000007310: D1FF002E 020663C6
	v_cndmask_b32_e64 v52, v46, v48, s[48:49]                  // 000000007318: D1000034 00C2612E
	v_cmp_u_f32_e64 s[48:49], v199, v199                       // 000000007320: D0480030 00038FC7
	v_add3_u32 v46, v199, v49, 1                               // 000000007328: D1FF002E 020663C7
	v_cndmask_b32_e64 v53, v46, v48, s[48:49]                  // 000000007330: D1000035 00C2612E
	v_perm_b32 v195, v53, v52, s52                             // 000000007338: D1ED00C3 00D26935
	v_cmp_u_f32_e64 s[48:49], v200, v200                       // 000000007340: D0480030 000391C8
	v_add3_u32 v46, v200, v49, 1                               // 000000007348: D1FF002E 020663C8
	v_cndmask_b32_e64 v52, v46, v48, s[48:49]                  // 000000007350: D1000034 00C2612E
	v_cmp_u_f32_e64 s[48:49], v201, v201                       // 000000007358: D0480030 000393C9
	v_add3_u32 v46, v201, v49, 1                               // 000000007360: D1FF002E 020663C9
	v_cndmask_b32_e64 v53, v46, v48, s[48:49]                  // 000000007368: D1000035 00C2612E
	v_perm_b32 v196, v53, v52, s52                             // 000000007370: D1ED00C4 00D26935
	v_cmp_u_f32_e64 s[48:49], v202, v202                       // 000000007378: D0480030 000395CA
	v_add3_u32 v46, v202, v49, 1                               // 000000007380: D1FF002E 020663CA
	v_cndmask_b32_e64 v52, v46, v48, s[48:49]                  // 000000007388: D1000034 00C2612E
	v_cmp_u_f32_e64 s[48:49], v203, v203                       // 000000007390: D0480030 000397CB
	v_add3_u32 v46, v203, v49, 1                               // 000000007398: D1FF002E 020663CB
	v_cndmask_b32_e64 v53, v46, v48, s[48:49]                  // 0000000073A0: D1000035 00C2612E
	v_perm_b32 v197, v53, v52, s52                             // 0000000073A8: D1ED00C5 00D26935
	v_cmp_u_f32_e64 s[48:49], v204, v204                       // 0000000073B0: D0480030 000399CC
	v_add3_u32 v46, v204, v49, 1                               // 0000000073B8: D1FF002E 020663CC
	v_cndmask_b32_e64 v52, v46, v48, s[48:49]                  // 0000000073C0: D1000034 00C2612E
	v_cmp_u_f32_e64 s[48:49], v205, v205                       // 0000000073C8: D0480030 00039BCD
	v_add3_u32 v46, v205, v49, 1                               // 0000000073D0: D1FF002E 020663CD
	v_cndmask_b32_e64 v53, v46, v48, s[48:49]                  // 0000000073D8: D1000035 00C2612E
	v_perm_b32 v198, v53, v52, s52                             // 0000000073E0: D1ED00C6 00D26935
	v_cmp_u_f32_e64 s[48:49], v206, v206                       // 0000000073E8: D0480030 00039DCE
	v_add3_u32 v46, v206, v49, 1                               // 0000000073F0: D1FF002E 020663CE
	v_cndmask_b32_e64 v52, v46, v48, s[48:49]                  // 0000000073F8: D1000034 00C2612E
	v_cmp_u_f32_e64 s[48:49], v207, v207                       // 000000007400: D0480030 00039FCF
	v_add3_u32 v46, v207, v49, 1                               // 000000007408: D1FF002E 020663CF
	v_cndmask_b32_e64 v53, v46, v48, s[48:49]                  // 000000007410: D1000035 00C2612E
	v_perm_b32 v199, v53, v52, s52                             // 000000007418: D1ED00C7 00D26935
	v_cmp_u_f32_e64 s[48:49], v208, v208                       // 000000007420: D0480030 0003A1D0
	v_add3_u32 v46, v208, v49, 1                               // 000000007428: D1FF002E 020663D0
	v_cndmask_b32_e64 v52, v46, v48, s[48:49]                  // 000000007430: D1000034 00C2612E
	v_cmp_u_f32_e64 s[48:49], v209, v209                       // 000000007438: D0480030 0003A3D1
	v_add3_u32 v46, v209, v49, 1                               // 000000007440: D1FF002E 020663D1
	v_cndmask_b32_e64 v53, v46, v48, s[48:49]                  // 000000007448: D1000035 00C2612E
	v_perm_b32 v200, v53, v52, s52                             // 000000007450: D1ED00C8 00D26935
	v_cmp_u_f32_e64 s[48:49], v210, v210                       // 000000007458: D0480030 0003A5D2
	v_add3_u32 v46, v210, v49, 1                               // 000000007460: D1FF002E 020663D2
	v_cndmask_b32_e64 v52, v46, v48, s[48:49]                  // 000000007468: D1000034 00C2612E
	v_cmp_u_f32_e64 s[48:49], v211, v211                       // 000000007470: D0480030 0003A7D3
	v_add3_u32 v46, v211, v49, 1                               // 000000007478: D1FF002E 020663D3
	v_cndmask_b32_e64 v53, v46, v48, s[48:49]                  // 000000007480: D1000035 00C2612E
	v_perm_b32 v201, v53, v52, s52                             // 000000007488: D1ED00C9 00D26935
	v_cmp_u_f32_e64 s[48:49], v212, v212                       // 000000007490: D0480030 0003A9D4
	v_add3_u32 v46, v212, v49, 1                               // 000000007498: D1FF002E 020663D4
	v_cndmask_b32_e64 v52, v46, v48, s[48:49]                  // 0000000074A0: D1000034 00C2612E
	v_cmp_u_f32_e64 s[48:49], v213, v213                       // 0000000074A8: D0480030 0003ABD5
	v_add3_u32 v46, v213, v49, 1                               // 0000000074B0: D1FF002E 020663D5
	v_cndmask_b32_e64 v53, v46, v48, s[48:49]                  // 0000000074B8: D1000035 00C2612E
	v_perm_b32 v202, v53, v52, s52                             // 0000000074C0: D1ED00CA 00D26935
	v_cmp_u_f32_e64 s[48:49], v214, v214                       // 0000000074C8: D0480030 0003ADD6
	v_add3_u32 v46, v214, v49, 1                               // 0000000074D0: D1FF002E 020663D6
	v_cndmask_b32_e64 v52, v46, v48, s[48:49]                  // 0000000074D8: D1000034 00C2612E
	v_cmp_u_f32_e64 s[48:49], v215, v215                       // 0000000074E0: D0480030 0003AFD7
	v_add3_u32 v46, v215, v49, 1                               // 0000000074E8: D1FF002E 020663D7
	v_cndmask_b32_e64 v53, v46, v48, s[48:49]                  // 0000000074F0: D1000035 00C2612E
	v_perm_b32 v203, v53, v52, s52                             // 0000000074F8: D1ED00CB 00D26935
	v_cmp_u_f32_e64 s[48:49], v216, v216                       // 000000007500: D0480030 0003B1D8
	v_add3_u32 v46, v216, v49, 1                               // 000000007508: D1FF002E 020663D8
	v_cndmask_b32_e64 v52, v46, v48, s[48:49]                  // 000000007510: D1000034 00C2612E
	v_cmp_u_f32_e64 s[48:49], v217, v217                       // 000000007518: D0480030 0003B3D9
	v_add3_u32 v46, v217, v49, 1                               // 000000007520: D1FF002E 020663D9
	v_cndmask_b32_e64 v53, v46, v48, s[48:49]                  // 000000007528: D1000035 00C2612E
	v_perm_b32 v204, v53, v52, s52                             // 000000007530: D1ED00CC 00D26935
	v_cmp_u_f32_e64 s[48:49], v218, v218                       // 000000007538: D0480030 0003B5DA
	v_add3_u32 v46, v218, v49, 1                               // 000000007540: D1FF002E 020663DA
	v_cndmask_b32_e64 v52, v46, v48, s[48:49]                  // 000000007548: D1000034 00C2612E
	v_cmp_u_f32_e64 s[48:49], v219, v219                       // 000000007550: D0480030 0003B7DB
	v_add3_u32 v46, v219, v49, 1                               // 000000007558: D1FF002E 020663DB
	v_cndmask_b32_e64 v53, v46, v48, s[48:49]                  // 000000007560: D1000035 00C2612E
	v_perm_b32 v205, v53, v52, s52                             // 000000007568: D1ED00CD 00D26935
	v_cmp_u_f32_e64 s[48:49], v220, v220                       // 000000007570: D0480030 0003B9DC
	v_add3_u32 v46, v220, v49, 1                               // 000000007578: D1FF002E 020663DC
	v_cndmask_b32_e64 v52, v46, v48, s[48:49]                  // 000000007580: D1000034 00C2612E
	v_cmp_u_f32_e64 s[48:49], v221, v221                       // 000000007588: D0480030 0003BBDD
	v_add3_u32 v46, v221, v49, 1                               // 000000007590: D1FF002E 020663DD
	v_cndmask_b32_e64 v53, v46, v48, s[48:49]                  // 000000007598: D1000035 00C2612E
	v_perm_b32 v206, v53, v52, s52                             // 0000000075A0: D1ED00CE 00D26935
	v_cmp_u_f32_e64 s[48:49], v222, v222                       // 0000000075A8: D0480030 0003BDDE
	v_add3_u32 v46, v222, v49, 1                               // 0000000075B0: D1FF002E 020663DE
	v_cndmask_b32_e64 v52, v46, v48, s[48:49]                  // 0000000075B8: D1000034 00C2612E
	v_cmp_u_f32_e64 s[48:49], v223, v223                       // 0000000075C0: D0480030 0003BFDF
	v_add3_u32 v46, v223, v49, 1                               // 0000000075C8: D1FF002E 020663DF
	v_cndmask_b32_e64 v53, v46, v48, s[48:49]                  // 0000000075D0: D1000035 00C2612E
	v_perm_b32 v207, v53, v52, s52                             // 0000000075D8: D1ED00CF 00D26935
	ds_write_b64 v3, v[192:193] offset:35072                   // 0000000075E0: D89A8900 0000C003
	ds_write_b64 v3, v[194:195] offset:43776                   // 0000000075E8: D89AAB00 0000C203
	ds_write_b64 v3, v[196:197] offset:37248                   // 0000000075F0: D89A9180 0000C403
	ds_write_b64 v3, v[198:199] offset:45952                   // 0000000075F8: D89AB380 0000C603
	ds_write_b64 v3, v[200:201] offset:39424                   // 000000007600: D89A9A00 0000C803
	ds_write_b64 v3, v[202:203] offset:48128                   // 000000007608: D89ABC00 0000CA03
	ds_write_b64 v3, v[204:205] offset:41600                   // 000000007610: D89AA280 0000CC03
	ds_write_b64 v3, v[206:207] offset:50304                   // 000000007618: D89AC480 0000CE03
	s_waitcnt lgkmcnt(0)                                       // 000000007620: BF8CC07F
	s_barrier                                                  // 000000007624: BF8A0000
	ds_read_b32 v64, v4 offset:35072                           // 000000007628: D86C8900 40000004
	ds_read_b32 v65, v4 offset:39424                           // 000000007630: D86C9A00 41000004
	ds_read_b32 v66, v4 offset:35104                           // 000000007638: D86C8920 42000004
	ds_read_b32 v67, v4 offset:39456                           // 000000007640: D86C9A20 43000004
	ds_read_b32 v68, v4 offset:35136                           // 000000007648: D86C8940 44000004
	ds_read_b32 v69, v4 offset:39488                           // 000000007650: D86C9A40 45000004
	ds_read_b32 v70, v4 offset:35168                           // 000000007658: D86C8960 46000004
	ds_read_b32 v71, v4 offset:39520                           // 000000007660: D86C9A60 47000004
	ds_read_b32 v72, v4 offset:43776                           // 000000007668: D86CAB00 48000004
	ds_read_b32 v73, v4 offset:48128                           // 000000007670: D86CBC00 49000004
	ds_read_b32 v74, v4 offset:43808                           // 000000007678: D86CAB20 4A000004
	ds_read_b32 v75, v4 offset:48160                           // 000000007680: D86CBC20 4B000004
	ds_read_b32 v76, v4 offset:43840                           // 000000007688: D86CAB40 4C000004
	ds_read_b32 v77, v4 offset:48192                           // 000000007690: D86CBC40 4D000004
	ds_read_b32 v78, v4 offset:43872                           // 000000007698: D86CAB60 4E000004
	ds_read_b32 v79, v4 offset:48224                           // 0000000076A0: D86CBC60 4F000004
	s_waitcnt lgkmcnt(0)                                       // 0000000076A8: BF8CC07F
	s_mov_b64 exec, s[20:21]                                   // 0000000076AC: BEFE0114
	global_atomic_pk_add_bf16 v80, v64, s[8:9]                 // 0000000076B0: DD488000 00084050
	s_mov_b64 exec, s[36:37]                                   // 0000000076B8: BEFE0124
	s_mov_b64 exec, s[20:21]                                   // 0000000076BC: BEFE0114
	global_atomic_pk_add_bf16 v80, v65, s[8:9] offset:256      // 0000000076C0: DD488100 00084150
	s_mov_b64 exec, s[36:37]                                   // 0000000076C8: BEFE0124
	s_mov_b64 exec, s[22:23]                                   // 0000000076CC: BEFE0116
	global_atomic_pk_add_bf16 v82, v66, s[8:9]                 // 0000000076D0: DD488000 00084252
	s_mov_b64 exec, s[36:37]                                   // 0000000076D8: BEFE0124
	s_mov_b64 exec, s[22:23]                                   // 0000000076DC: BEFE0116
	global_atomic_pk_add_bf16 v82, v67, s[8:9] offset:256      // 0000000076E0: DD488100 00084352
	s_mov_b64 exec, s[36:37]                                   // 0000000076E8: BEFE0124
	s_mov_b64 exec, s[24:25]                                   // 0000000076EC: BEFE0118
	global_atomic_pk_add_bf16 v84, v68, s[8:9]                 // 0000000076F0: DD488000 00084454
	s_mov_b64 exec, s[36:37]                                   // 0000000076F8: BEFE0124
	s_mov_b64 exec, s[24:25]                                   // 0000000076FC: BEFE0118
	global_atomic_pk_add_bf16 v84, v69, s[8:9] offset:256      // 000000007700: DD488100 00084554
	s_mov_b64 exec, s[36:37]                                   // 000000007708: BEFE0124
	s_mov_b64 exec, s[26:27]                                   // 00000000770C: BEFE011A
	global_atomic_pk_add_bf16 v86, v70, s[8:9]                 // 000000007710: DD488000 00084656
	s_mov_b64 exec, s[36:37]                                   // 000000007718: BEFE0124
	s_mov_b64 exec, s[26:27]                                   // 00000000771C: BEFE011A
	global_atomic_pk_add_bf16 v86, v71, s[8:9] offset:256      // 000000007720: DD488100 00084756
	s_mov_b64 exec, s[36:37]                                   // 000000007728: BEFE0124
	s_mov_b64 exec, s[28:29]                                   // 00000000772C: BEFE011C
	global_atomic_pk_add_bf16 v88, v72, s[8:9]                 // 000000007730: DD488000 00084858
	s_mov_b64 exec, s[36:37]                                   // 000000007738: BEFE0124
	s_mov_b64 exec, s[28:29]                                   // 00000000773C: BEFE011C
	global_atomic_pk_add_bf16 v88, v73, s[8:9] offset:256      // 000000007740: DD488100 00084958
	s_mov_b64 exec, s[36:37]                                   // 000000007748: BEFE0124
	s_mov_b64 exec, s[30:31]                                   // 00000000774C: BEFE011E
	global_atomic_pk_add_bf16 v90, v74, s[8:9]                 // 000000007750: DD488000 00084A5A
	s_mov_b64 exec, s[36:37]                                   // 000000007758: BEFE0124
	s_mov_b64 exec, s[30:31]                                   // 00000000775C: BEFE011E
	global_atomic_pk_add_bf16 v90, v75, s[8:9] offset:256      // 000000007760: DD488100 00084B5A
	s_mov_b64 exec, s[36:37]                                   // 000000007768: BEFE0124
	s_mov_b64 exec, s[32:33]                                   // 00000000776C: BEFE0120
	global_atomic_pk_add_bf16 v92, v76, s[8:9]                 // 000000007770: DD488000 00084C5C
	s_mov_b64 exec, s[36:37]                                   // 000000007778: BEFE0124
	s_mov_b64 exec, s[32:33]                                   // 00000000777C: BEFE0120
	global_atomic_pk_add_bf16 v92, v77, s[8:9] offset:256      // 000000007780: DD488100 00084D5C
	s_mov_b64 exec, s[36:37]                                   // 000000007788: BEFE0124
	s_mov_b64 exec, s[34:35]                                   // 00000000778C: BEFE0122
	global_atomic_pk_add_bf16 v94, v78, s[8:9]                 // 000000007790: DD488000 00084E5E
	s_mov_b64 exec, s[36:37]                                   // 000000007798: BEFE0124
	s_mov_b64 exec, s[34:35]                                   // 00000000779C: BEFE0122
	global_atomic_pk_add_bf16 v94, v79, s[8:9] offset:256      // 0000000077A0: DD488100 00084F5E
	s_mov_b64 exec, s[36:37]                                   // 0000000077A8: BEFE0124
	s_add_u32 s8, s59, s8                                      // 0000000077AC: 8008083B
	s_addc_u32 s9, 0, s9                                       // 0000000077B0: 82090980
	s_addk_i32 s80, 0x100                                      // 0000000077B4: B7500100
	s_cmp_lt_i32 s80, s81                                      // 0000000077B8: BF045150
	s_cbranch_scc0 label_15CC                                  // 0000000077BC: BF84035C
	s_waitcnt vmcnt(45)                                        // 0000000077C0: BF8C8F7D
	s_barrier                                                  // 0000000077C4: BF8A0000
	v_mfma_i32_16x16x32_i8 v[224:227], a[128:129], v[128:129], 0// 0000000077C8: D3D700E0 0A030180
	v_mfma_i32_16x16x32_i8 v[224:227], a[130:131], v[130:131], v[224:227]// 0000000077D0: D3D700E0 0F830582
	buffer_load_dwordx4 a[0:3], v42, s[12:15], 0 offen         // 0000000077D8: E05C1000 8083002A
	v_mfma_i32_16x16x32_i8 v[228:231], a[128:129], v[160:161], 0// 0000000077E0: D3D700E4 0A034180
	v_mfma_i32_16x16x32_i8 v[228:231], a[130:131], v[162:163], v[228:231]// 0000000077E8: D3D700E4 0F934582
	v_mfma_i32_16x16x32_i8 v[232:235], a[132:133], v[128:129], 0// 0000000077F0: D3D700E8 0A030184
	v_mfma_i32_16x16x32_i8 v[232:235], a[134:135], v[130:131], v[232:235]// 0000000077F8: D3D700E8 0FA30586
	buffer_load_dwordx4 a[4:7], v43, s[12:15], 0 offen         // 000000007800: E05C1000 8083042B
	v_mfma_i32_16x16x32_i8 v[236:239], a[132:133], v[160:161], 0// 000000007808: D3D700EC 0A034184
	v_mfma_i32_16x16x32_i8 v[236:239], a[134:135], v[162:163], v[236:239]// 000000007810: D3D700EC 0FB34586
	v_mfma_i32_16x16x32_i8 v[240:243], a[136:137], v[128:129], 0// 000000007818: D3D700F0 0A030188
	v_mfma_i32_16x16x32_i8 v[240:243], a[138:139], v[130:131], v[240:243]// 000000007820: D3D700F0 0FC3058A
	buffer_load_dwordx4 a[8:11], v44, s[12:15], 0 offen        // 000000007828: E05C1000 8083082C
	v_mfma_i32_16x16x32_i8 v[244:247], a[136:137], v[160:161], 0// 000000007830: D3D700F4 0A034188
	v_mfma_i32_16x16x32_i8 v[244:247], a[138:139], v[162:163], v[244:247]// 000000007838: D3D700F4 0FD3458A
	v_mfma_i32_16x16x32_i8 v[248:251], a[140:141], v[128:129], 0// 000000007840: D3D700F8 0A03018C
	v_mfma_i32_16x16x32_i8 v[248:251], a[142:143], v[130:131], v[248:251]// 000000007848: D3D700F8 0FE3058E
	buffer_load_dwordx4 a[12:15], v45, s[12:15], 0 offen       // 000000007850: E05C1000 80830C2D
	s_add_u32 s12, s78, s12                                    // 000000007858: 800C0C4E
	s_addc_u32 s13, 0, s13                                     // 00000000785C: 820D0D80
	v_mfma_i32_16x16x32_i8 v[252:255], a[140:141], v[160:161], 0// 000000007860: D3D700FC 0A03418C
	v_mfma_i32_16x16x32_i8 v[252:255], a[142:143], v[162:163], v[252:255]// 000000007868: D3D700FC 0FF3458E
	s_waitcnt vmcnt(45)                                        // 000000007870: BF8C8F7D
	v_mfma_i32_16x16x32_i8 v[224:227], a[144:145], v[132:133], v[224:227]// 000000007874: D3D700E0 0F830990
	v_mfma_i32_16x16x32_i8 v[224:227], a[146:147], v[134:135], v[224:227]// 00000000787C: D3D700E0 0F830D92
	buffer_load_dwordx4 a[16:19], v42, s[12:15], 0 offen       // 000000007884: E05C1000 8083102A
	v_mfma_i32_16x16x32_i8 v[228:231], a[144:145], v[164:165], v[228:231]// 00000000788C: D3D700E4 0F934990
	v_mfma_i32_16x16x32_i8 v[228:231], a[146:147], v[166:167], v[228:231]// 000000007894: D3D700E4 0F934D92
	v_mfma_i32_16x16x32_i8 v[232:235], a[148:149], v[132:133], v[232:235]// 00000000789C: D3D700E8 0FA30994
	v_mfma_i32_16x16x32_i8 v[232:235], a[150:151], v[134:135], v[232:235]// 0000000078A4: D3D700E8 0FA30D96
	buffer_load_dwordx4 a[20:23], v43, s[12:15], 0 offen       // 0000000078AC: E05C1000 8083142B
	v_mfma_i32_16x16x32_i8 v[236:239], a[148:149], v[164:165], v[236:239]// 0000000078B4: D3D700EC 0FB34994
	v_mfma_i32_16x16x32_i8 v[236:239], a[150:151], v[166:167], v[236:239]// 0000000078BC: D3D700EC 0FB34D96
	v_mfma_i32_16x16x32_i8 v[240:243], a[152:153], v[132:133], v[240:243]// 0000000078C4: D3D700F0 0FC30998
	v_mfma_i32_16x16x32_i8 v[240:243], a[154:155], v[134:135], v[240:243]// 0000000078CC: D3D700F0 0FC30D9A
	buffer_load_dwordx4 a[24:27], v44, s[12:15], 0 offen       // 0000000078D4: E05C1000 8083182C
	v_mfma_i32_16x16x32_i8 v[244:247], a[152:153], v[164:165], v[244:247]// 0000000078DC: D3D700F4 0FD34998
	v_mfma_i32_16x16x32_i8 v[244:247], a[154:155], v[166:167], v[244:247]// 0000000078E4: D3D700F4 0FD34D9A
	v_mfma_i32_16x16x32_i8 v[248:251], a[156:157], v[132:133], v[248:251]// 0000000078EC: D3D700F8 0FE3099C
	v_mfma_i32_16x16x32_i8 v[248:251], a[158:159], v[134:135], v[248:251]// 0000000078F4: D3D700F8 0FE30D9E
	buffer_load_dwordx4 a[28:31], v45, s[12:15], 0 offen       // 0000000078FC: E05C1000 80831C2D
	s_add_u32 s12, s78, s12                                    // 000000007904: 800C0C4E
	s_addc_u32 s13, 0, s13                                     // 000000007908: 820D0D80
	v_mfma_i32_16x16x32_i8 v[252:255], a[156:157], v[164:165], v[252:255]// 00000000790C: D3D700FC 0FF3499C
	v_mfma_i32_16x16x32_i8 v[252:255], a[158:159], v[166:167], v[252:255]// 000000007914: D3D700FC 0FF34D9E
	s_waitcnt vmcnt(45)                                        // 00000000791C: BF8C8F7D
	v_mfma_i32_16x16x32_i8 v[224:227], a[160:161], v[136:137], v[224:227]// 000000007920: D3D700E0 0F8311A0
	v_mfma_i32_16x16x32_i8 v[224:227], a[162:163], v[138:139], v[224:227]// 000000007928: D3D700E0 0F8315A2
	buffer_load_dwordx4 a[32:35], v42, s[12:15], 0 offen       // 000000007930: E05C1000 8083202A
	v_mfma_i32_16x16x32_i8 v[228:231], a[160:161], v[168:169], v[228:231]// 000000007938: D3D700E4 0F9351A0
	v_mfma_i32_16x16x32_i8 v[228:231], a[162:163], v[170:171], v[228:231]// 000000007940: D3D700E4 0F9355A2
	v_mfma_i32_16x16x32_i8 v[232:235], a[164:165], v[136:137], v[232:235]// 000000007948: D3D700E8 0FA311A4
	v_mfma_i32_16x16x32_i8 v[232:235], a[166:167], v[138:139], v[232:235]// 000000007950: D3D700E8 0FA315A6
	buffer_load_dwordx4 a[36:39], v43, s[12:15], 0 offen       // 000000007958: E05C1000 8083242B
	v_mfma_i32_16x16x32_i8 v[236:239], a[164:165], v[168:169], v[236:239]// 000000007960: D3D700EC 0FB351A4
	v_mfma_i32_16x16x32_i8 v[236:239], a[166:167], v[170:171], v[236:239]// 000000007968: D3D700EC 0FB355A6
	v_mfma_i32_16x16x32_i8 v[240:243], a[168:169], v[136:137], v[240:243]// 000000007970: D3D700F0 0FC311A8
	v_mfma_i32_16x16x32_i8 v[240:243], a[170:171], v[138:139], v[240:243]// 000000007978: D3D700F0 0FC315AA
	buffer_load_dwordx4 a[40:43], v44, s[12:15], 0 offen       // 000000007980: E05C1000 8083282C
	v_mfma_i32_16x16x32_i8 v[244:247], a[168:169], v[168:169], v[244:247]// 000000007988: D3D700F4 0FD351A8
	v_mfma_i32_16x16x32_i8 v[244:247], a[170:171], v[170:171], v[244:247]// 000000007990: D3D700F4 0FD355AA
	v_mfma_i32_16x16x32_i8 v[248:251], a[172:173], v[136:137], v[248:251]// 000000007998: D3D700F8 0FE311AC
	v_mfma_i32_16x16x32_i8 v[248:251], a[174:175], v[138:139], v[248:251]// 0000000079A0: D3D700F8 0FE315AE
	buffer_load_dwordx4 a[44:47], v45, s[12:15], 0 offen       // 0000000079A8: E05C1000 80832C2D
	s_add_u32 s12, s78, s12                                    // 0000000079B0: 800C0C4E
	s_addc_u32 s13, 0, s13                                     // 0000000079B4: 820D0D80
	v_mfma_i32_16x16x32_i8 v[252:255], a[172:173], v[168:169], v[252:255]// 0000000079B8: D3D700FC 0FF351AC
	v_mfma_i32_16x16x32_i8 v[252:255], a[174:175], v[170:171], v[252:255]// 0000000079C0: D3D700FC 0FF355AE
	s_waitcnt vmcnt(45)                                        // 0000000079C8: BF8C8F7D
	v_mfma_i32_16x16x32_i8 v[224:227], a[176:177], v[140:141], v[224:227]// 0000000079CC: D3D700E0 0F8319B0
	v_mfma_i32_16x16x32_i8 v[224:227], a[178:179], v[142:143], v[224:227]// 0000000079D4: D3D700E0 0F831DB2
	buffer_load_dwordx4 a[48:51], v42, s[12:15], 0 offen       // 0000000079DC: E05C1000 8083302A
	v_mfma_i32_16x16x32_i8 v[228:231], a[176:177], v[172:173], v[228:231]// 0000000079E4: D3D700E4 0F9359B0
	v_mfma_i32_16x16x32_i8 v[228:231], a[178:179], v[174:175], v[228:231]// 0000000079EC: D3D700E4 0F935DB2
	v_mfma_i32_16x16x32_i8 v[232:235], a[180:181], v[140:141], v[232:235]// 0000000079F4: D3D700E8 0FA319B4
	v_mfma_i32_16x16x32_i8 v[232:235], a[182:183], v[142:143], v[232:235]// 0000000079FC: D3D700E8 0FA31DB6
	buffer_load_dwordx4 a[52:55], v43, s[12:15], 0 offen       // 000000007A04: E05C1000 8083342B
	v_mfma_i32_16x16x32_i8 v[236:239], a[180:181], v[172:173], v[236:239]// 000000007A0C: D3D700EC 0FB359B4
	v_mfma_i32_16x16x32_i8 v[236:239], a[182:183], v[174:175], v[236:239]// 000000007A14: D3D700EC 0FB35DB6
	v_mfma_i32_16x16x32_i8 v[240:243], a[184:185], v[140:141], v[240:243]// 000000007A1C: D3D700F0 0FC319B8
	v_mfma_i32_16x16x32_i8 v[240:243], a[186:187], v[142:143], v[240:243]// 000000007A24: D3D700F0 0FC31DBA
	buffer_load_dwordx4 a[56:59], v44, s[12:15], 0 offen       // 000000007A2C: E05C1000 8083382C
	v_mfma_i32_16x16x32_i8 v[244:247], a[184:185], v[172:173], v[244:247]// 000000007A34: D3D700F4 0FD359B8
	v_mfma_i32_16x16x32_i8 v[244:247], a[186:187], v[174:175], v[244:247]// 000000007A3C: D3D700F4 0FD35DBA
	v_mfma_i32_16x16x32_i8 v[248:251], a[188:189], v[140:141], v[248:251]// 000000007A44: D3D700F8 0FE319BC
	v_mfma_i32_16x16x32_i8 v[248:251], a[190:191], v[142:143], v[248:251]// 000000007A4C: D3D700F8 0FE31DBE
	buffer_load_dwordx4 a[60:63], v45, s[12:15], 0 offen       // 000000007A54: E05C1000 80833C2D
	s_add_u32 s12, s78, s12                                    // 000000007A5C: 800C0C4E
	s_addc_u32 s13, 0, s13                                     // 000000007A60: 820D0D80
	v_mfma_i32_16x16x32_i8 v[252:255], a[188:189], v[172:173], v[252:255]// 000000007A64: D3D700FC 0FF359BC
	v_mfma_i32_16x16x32_i8 v[252:255], a[190:191], v[174:175], v[252:255]// 000000007A6C: D3D700FC 0FF35DBE
	s_waitcnt vmcnt(45)                                        // 000000007A74: BF8C8F7D
	v_mfma_i32_16x16x32_i8 v[224:227], a[192:193], v[144:145], v[224:227]// 000000007A78: D3D700E0 0F8321C0
	v_mfma_i32_16x16x32_i8 v[224:227], a[194:195], v[146:147], v[224:227]// 000000007A80: D3D700E0 0F8325C2
	buffer_load_dwordx4 a[64:67], v42, s[12:15], 0 offen       // 000000007A88: E05C1000 8083402A
	v_mfma_i32_16x16x32_i8 v[228:231], a[192:193], v[176:177], v[228:231]// 000000007A90: D3D700E4 0F9361C0
	v_mfma_i32_16x16x32_i8 v[228:231], a[194:195], v[178:179], v[228:231]// 000000007A98: D3D700E4 0F9365C2
	v_mfma_i32_16x16x32_i8 v[232:235], a[196:197], v[144:145], v[232:235]// 000000007AA0: D3D700E8 0FA321C4
	v_mfma_i32_16x16x32_i8 v[232:235], a[198:199], v[146:147], v[232:235]// 000000007AA8: D3D700E8 0FA325C6
	buffer_load_dwordx4 a[68:71], v43, s[12:15], 0 offen       // 000000007AB0: E05C1000 8083442B
	v_mfma_i32_16x16x32_i8 v[236:239], a[196:197], v[176:177], v[236:239]// 000000007AB8: D3D700EC 0FB361C4
	v_mfma_i32_16x16x32_i8 v[236:239], a[198:199], v[178:179], v[236:239]// 000000007AC0: D3D700EC 0FB365C6
	v_mfma_i32_16x16x32_i8 v[240:243], a[200:201], v[144:145], v[240:243]// 000000007AC8: D3D700F0 0FC321C8
	v_mfma_i32_16x16x32_i8 v[240:243], a[202:203], v[146:147], v[240:243]// 000000007AD0: D3D700F0 0FC325CA
	buffer_load_dwordx4 a[72:75], v44, s[12:15], 0 offen       // 000000007AD8: E05C1000 8083482C
	v_mfma_i32_16x16x32_i8 v[244:247], a[200:201], v[176:177], v[244:247]// 000000007AE0: D3D700F4 0FD361C8
	v_mfma_i32_16x16x32_i8 v[244:247], a[202:203], v[178:179], v[244:247]// 000000007AE8: D3D700F4 0FD365CA
	v_mfma_i32_16x16x32_i8 v[248:251], a[204:205], v[144:145], v[248:251]// 000000007AF0: D3D700F8 0FE321CC
	v_mfma_i32_16x16x32_i8 v[248:251], a[206:207], v[146:147], v[248:251]// 000000007AF8: D3D700F8 0FE325CE
	buffer_load_dwordx4 a[76:79], v45, s[12:15], 0 offen       // 000000007B00: E05C1000 80834C2D
	s_add_u32 s12, s78, s12                                    // 000000007B08: 800C0C4E
	s_addc_u32 s13, 0, s13                                     // 000000007B0C: 820D0D80
	v_mfma_i32_16x16x32_i8 v[252:255], a[204:205], v[176:177], v[252:255]// 000000007B10: D3D700FC 0FF361CC
	v_mfma_i32_16x16x32_i8 v[252:255], a[206:207], v[178:179], v[252:255]// 000000007B18: D3D700FC 0FF365CE
	s_waitcnt vmcnt(45)                                        // 000000007B20: BF8C8F7D
	v_mfma_i32_16x16x32_i8 v[224:227], a[208:209], v[148:149], v[224:227]// 000000007B24: D3D700E0 0F8329D0
	v_mfma_i32_16x16x32_i8 v[224:227], a[210:211], v[150:151], v[224:227]// 000000007B2C: D3D700E0 0F832DD2
	buffer_load_dwordx4 a[80:83], v42, s[12:15], 0 offen       // 000000007B34: E05C1000 8083502A
	v_mfma_i32_16x16x32_i8 v[228:231], a[208:209], v[180:181], v[228:231]// 000000007B3C: D3D700E4 0F9369D0
	v_mfma_i32_16x16x32_i8 v[228:231], a[210:211], v[182:183], v[228:231]// 000000007B44: D3D700E4 0F936DD2
	v_mfma_i32_16x16x32_i8 v[232:235], a[212:213], v[148:149], v[232:235]// 000000007B4C: D3D700E8 0FA329D4
	v_mfma_i32_16x16x32_i8 v[232:235], a[214:215], v[150:151], v[232:235]// 000000007B54: D3D700E8 0FA32DD6
	buffer_load_dwordx4 a[84:87], v43, s[12:15], 0 offen       // 000000007B5C: E05C1000 8083542B
	v_mfma_i32_16x16x32_i8 v[236:239], a[212:213], v[180:181], v[236:239]// 000000007B64: D3D700EC 0FB369D4
	v_mfma_i32_16x16x32_i8 v[236:239], a[214:215], v[182:183], v[236:239]// 000000007B6C: D3D700EC 0FB36DD6
	v_mfma_i32_16x16x32_i8 v[240:243], a[216:217], v[148:149], v[240:243]// 000000007B74: D3D700F0 0FC329D8
	v_mfma_i32_16x16x32_i8 v[240:243], a[218:219], v[150:151], v[240:243]// 000000007B7C: D3D700F0 0FC32DDA
	buffer_load_dwordx4 a[88:91], v44, s[12:15], 0 offen       // 000000007B84: E05C1000 8083582C
	v_mfma_i32_16x16x32_i8 v[244:247], a[216:217], v[180:181], v[244:247]// 000000007B8C: D3D700F4 0FD369D8
	v_mfma_i32_16x16x32_i8 v[244:247], a[218:219], v[182:183], v[244:247]// 000000007B94: D3D700F4 0FD36DDA
	v_mfma_i32_16x16x32_i8 v[248:251], a[220:221], v[148:149], v[248:251]// 000000007B9C: D3D700F8 0FE329DC
	v_mfma_i32_16x16x32_i8 v[248:251], a[222:223], v[150:151], v[248:251]// 000000007BA4: D3D700F8 0FE32DDE
	buffer_load_dwordx4 a[92:95], v45, s[12:15], 0 offen       // 000000007BAC: E05C1000 80835C2D
	s_add_u32 s12, s78, s12                                    // 000000007BB4: 800C0C4E
	s_addc_u32 s13, 0, s13                                     // 000000007BB8: 820D0D80
	v_mfma_i32_16x16x32_i8 v[252:255], a[220:221], v[180:181], v[252:255]// 000000007BBC: D3D700FC 0FF369DC
	v_mfma_i32_16x16x32_i8 v[252:255], a[222:223], v[182:183], v[252:255]// 000000007BC4: D3D700FC 0FF36DDE
	s_waitcnt vmcnt(45)                                        // 000000007BCC: BF8C8F7D
	v_mfma_i32_16x16x32_i8 v[224:227], a[224:225], v[152:153], v[224:227]// 000000007BD0: D3D700E0 0F8331E0
	v_mfma_i32_16x16x32_i8 v[224:227], a[226:227], v[154:155], v[224:227]// 000000007BD8: D3D700E0 0F8335E2
	buffer_load_dwordx4 a[96:99], v42, s[12:15], 0 offen       // 000000007BE0: E05C1000 8083602A
	v_mfma_i32_16x16x32_i8 v[228:231], a[224:225], v[184:185], v[228:231]// 000000007BE8: D3D700E4 0F9371E0
	v_mfma_i32_16x16x32_i8 v[228:231], a[226:227], v[186:187], v[228:231]// 000000007BF0: D3D700E4 0F9375E2
	v_mfma_i32_16x16x32_i8 v[232:235], a[228:229], v[152:153], v[232:235]// 000000007BF8: D3D700E8 0FA331E4
	v_mfma_i32_16x16x32_i8 v[232:235], a[230:231], v[154:155], v[232:235]// 000000007C00: D3D700E8 0FA335E6
	buffer_load_dwordx4 a[100:103], v43, s[12:15], 0 offen     // 000000007C08: E05C1000 8083642B
	v_mfma_i32_16x16x32_i8 v[236:239], a[228:229], v[184:185], v[236:239]// 000000007C10: D3D700EC 0FB371E4
	v_mfma_i32_16x16x32_i8 v[236:239], a[230:231], v[186:187], v[236:239]// 000000007C18: D3D700EC 0FB375E6
	v_mfma_i32_16x16x32_i8 v[240:243], a[232:233], v[152:153], v[240:243]// 000000007C20: D3D700F0 0FC331E8
	v_mfma_i32_16x16x32_i8 v[240:243], a[234:235], v[154:155], v[240:243]// 000000007C28: D3D700F0 0FC335EA
	buffer_load_dwordx4 a[104:107], v44, s[12:15], 0 offen     // 000000007C30: E05C1000 8083682C
	v_mfma_i32_16x16x32_i8 v[244:247], a[232:233], v[184:185], v[244:247]// 000000007C38: D3D700F4 0FD371E8
	v_mfma_i32_16x16x32_i8 v[244:247], a[234:235], v[186:187], v[244:247]// 000000007C40: D3D700F4 0FD375EA
	v_mfma_i32_16x16x32_i8 v[248:251], a[236:237], v[152:153], v[248:251]// 000000007C48: D3D700F8 0FE331EC
	v_mfma_i32_16x16x32_i8 v[248:251], a[238:239], v[154:155], v[248:251]// 000000007C50: D3D700F8 0FE335EE
	buffer_load_dwordx4 a[108:111], v45, s[12:15], 0 offen     // 000000007C58: E05C1000 80836C2D
	s_add_u32 s12, s78, s12                                    // 000000007C60: 800C0C4E
	s_addc_u32 s13, 0, s13                                     // 000000007C64: 820D0D80
	v_mfma_i32_16x16x32_i8 v[252:255], a[236:237], v[184:185], v[252:255]// 000000007C68: D3D700FC 0FF371EC
	v_mfma_i32_16x16x32_i8 v[252:255], a[238:239], v[186:187], v[252:255]// 000000007C70: D3D700FC 0FF375EE
	s_waitcnt vmcnt(44)                                        // 000000007C78: BF8C8F7C
	v_mfma_i32_16x16x32_i8 v[224:227], a[240:241], v[156:157], v[224:227]// 000000007C7C: D3D700E0 0F8339F0
	v_mfma_i32_16x16x32_i8 v[224:227], a[242:243], v[158:159], v[224:227]// 000000007C84: D3D700E0 0F833DF2
	buffer_load_dwordx4 a[112:115], v42, s[12:15], 0 offen     // 000000007C8C: E05C1000 8083702A
	v_mfma_i32_16x16x32_i8 v[228:231], a[240:241], v[188:189], v[228:231]// 000000007C94: D3D700E4 0F9379F0
	v_mfma_i32_16x16x32_i8 v[228:231], a[242:243], v[190:191], v[228:231]// 000000007C9C: D3D700E4 0F937DF2
	buffer_load_dword v12, v5, s[16:19], 0 offen               // 000000007CA4: E0501000 80040C05
	v_mfma_i32_16x16x32_i8 v[232:235], a[244:245], v[156:157], v[232:235]// 000000007CAC: D3D700E8 0FA339F4
	v_mfma_i32_16x16x32_i8 v[232:235], a[246:247], v[158:159], v[232:235]// 000000007CB4: D3D700E8 0FA33DF6
	buffer_load_dwordx4 a[116:119], v43, s[12:15], 0 offen     // 000000007CBC: E05C1000 8083742B
	v_mfma_i32_16x16x32_i8 v[236:239], a[244:245], v[188:189], v[236:239]// 000000007CC4: D3D700EC 0FB379F4
	v_mfma_i32_16x16x32_i8 v[236:239], a[246:247], v[190:191], v[236:239]// 000000007CCC: D3D700EC 0FB37DF6
	v_mfma_i32_16x16x32_i8 v[240:243], a[248:249], v[156:157], v[240:243]// 000000007CD4: D3D700F0 0FC339F8
	v_mfma_i32_16x16x32_i8 v[240:243], a[250:251], v[158:159], v[240:243]// 000000007CDC: D3D700F0 0FC33DFA
	buffer_load_dwordx4 a[120:123], v44, s[12:15], 0 offen     // 000000007CE4: E05C1000 8083782C
	v_mfma_i32_16x16x32_i8 v[244:247], a[248:249], v[188:189], v[244:247]// 000000007CEC: D3D700F4 0FD379F8
	v_mfma_i32_16x16x32_i8 v[244:247], a[250:251], v[190:191], v[244:247]// 000000007CF4: D3D700F4 0FD37DFA
	v_mfma_i32_16x16x32_i8 v[248:251], a[252:253], v[156:157], v[248:251]// 000000007CFC: D3D700F8 0FE339FC
	v_mfma_i32_16x16x32_i8 v[248:251], a[254:255], v[158:159], v[248:251]// 000000007D04: D3D700F8 0FE33DFE
	buffer_load_dwordx4 a[124:127], v45, s[12:15], 0 offen     // 000000007D0C: E05C1000 80837C2D
	v_mfma_i32_16x16x32_i8 v[252:255], a[252:253], v[188:189], v[252:255]// 000000007D14: D3D700FC 0FF379FC
	v_mfma_i32_16x16x32_i8 v[252:255], a[254:255], v[190:191], v[252:255]// 000000007D1C: D3D700FC 0FF37DFE
	s_add_u32 s60, 0x200, s80                                  // 000000007D24: 803C50FF 00000200
	s_cmp_lt_u32 s60, s81                                      // 000000007D2C: BF0A513C
	s_cselect_b32 s56, s56, 0                                  // 000000007D30: 85388038
	s_cselect_b32 s78, s78, 0                                  // 000000007D34: 854E804E
	s_cselect_b32 s79, s79, 0                                  // 000000007D38: 854F804F
	s_add_u32 s12, s56, s12                                    // 000000007D3C: 800C0C38
	s_addc_u32 s13, 0, s13                                     // 000000007D40: 820D0D80
	s_add_u32 s16, s79, s16                                    // 000000007D44: 8010104F
	s_addc_u32 s17, 0, s17                                     // 000000007D48: 82111180
	v_cvt_f32_i32_e32 v224, v224                               // 000000007D4C: 7FC00BE0
	v_cvt_f32_i32_e32 v225, v225                               // 000000007D50: 7FC20BE1
	v_cvt_f32_i32_e32 v226, v226                               // 000000007D54: 7FC40BE2
	v_cvt_f32_i32_e32 v227, v227                               // 000000007D58: 7FC60BE3
	v_mul_f32_e32 v224, v24, v224                              // 000000007D5C: 0BC1C118
	v_mul_f32_e32 v225, v24, v225                              // 000000007D60: 0BC3C318
	v_mul_f32_e32 v226, v24, v226                              // 000000007D64: 0BC5C518
	v_mul_f32_e32 v227, v24, v227                              // 000000007D68: 0BC7C718
	v_mul_f32_dpp v224, v13, v224 row_newbcast:0 row_mask:0xf bank_mask:0xf// 000000007D6C: 0BC1C0FA FF01500D
	v_mul_f32_dpp v225, v13, v225 row_newbcast:1 row_mask:0xf bank_mask:0xf// 000000007D74: 0BC3C2FA FF01510D
	v_mul_f32_dpp v226, v13, v226 row_newbcast:2 row_mask:0xf bank_mask:0xf// 000000007D7C: 0BC5C4FA FF01520D
	v_mul_f32_dpp v227, v13, v227 row_newbcast:3 row_mask:0xf bank_mask:0xf// 000000007D84: 0BC7C6FA FF01530D
	v_mul_f32_e32 v224, v20, v224                              // 000000007D8C: 0BC1C114
	v_mul_f32_e32 v225, v20, v225                              // 000000007D90: 0BC3C314
	v_mul_f32_e32 v226, v20, v226                              // 000000007D94: 0BC5C514
	v_mul_f32_e32 v227, v20, v227                              // 000000007D98: 0BC7C714
	v_cvt_f32_i32_e32 v228, v228                               // 000000007D9C: 7FC80BE4
	v_cvt_f32_i32_e32 v229, v229                               // 000000007DA0: 7FCA0BE5
	v_cvt_f32_i32_e32 v230, v230                               // 000000007DA4: 7FCC0BE6
	v_cvt_f32_i32_e32 v231, v231                               // 000000007DA8: 7FCE0BE7
	v_mul_f32_e32 v228, v25, v228                              // 000000007DAC: 0BC9C919
	v_mul_f32_e32 v229, v25, v229                              // 000000007DB0: 0BCBCB19
	v_mul_f32_e32 v230, v25, v230                              // 000000007DB4: 0BCDCD19
	v_mul_f32_e32 v231, v25, v231                              // 000000007DB8: 0BCFCF19
	v_mul_f32_dpp v228, v13, v228 row_newbcast:0 row_mask:0xf bank_mask:0xf// 000000007DBC: 0BC9C8FA FF01500D
	v_mul_f32_dpp v229, v13, v229 row_newbcast:1 row_mask:0xf bank_mask:0xf// 000000007DC4: 0BCBCAFA FF01510D
	v_mul_f32_dpp v230, v13, v230 row_newbcast:2 row_mask:0xf bank_mask:0xf// 000000007DCC: 0BCDCCFA FF01520D
	v_mul_f32_dpp v231, v13, v231 row_newbcast:3 row_mask:0xf bank_mask:0xf// 000000007DD4: 0BCFCEFA FF01530D
	v_mul_f32_e32 v228, v21, v228                              // 000000007DDC: 0BC9C915
	v_mul_f32_e32 v229, v21, v229                              // 000000007DE0: 0BCBCB15
	v_mul_f32_e32 v230, v21, v230                              // 000000007DE4: 0BCDCD15
	v_mul_f32_e32 v231, v21, v231                              // 000000007DE8: 0BCFCF15
	v_cvt_f32_i32_e32 v232, v232                               // 000000007DEC: 7FD00BE8
	v_cvt_f32_i32_e32 v233, v233                               // 000000007DF0: 7FD20BE9
	v_cvt_f32_i32_e32 v234, v234                               // 000000007DF4: 7FD40BEA
	v_cvt_f32_i32_e32 v235, v235                               // 000000007DF8: 7FD60BEB
	v_mul_f32_e32 v232, v24, v232                              // 000000007DFC: 0BD1D118
	v_mul_f32_e32 v233, v24, v233                              // 000000007E00: 0BD3D318
	v_mul_f32_e32 v234, v24, v234                              // 000000007E04: 0BD5D518
	v_mul_f32_e32 v235, v24, v235                              // 000000007E08: 0BD7D718
	v_mul_f32_dpp v232, v13, v232 row_newbcast:4 row_mask:0xf bank_mask:0xf// 000000007E0C: 0BD1D0FA FF01540D
	v_mul_f32_dpp v233, v13, v233 row_newbcast:5 row_mask:0xf bank_mask:0xf// 000000007E14: 0BD3D2FA FF01550D
	v_mul_f32_dpp v234, v13, v234 row_newbcast:6 row_mask:0xf bank_mask:0xf// 000000007E1C: 0BD5D4FA FF01560D
	v_mul_f32_dpp v235, v13, v235 row_newbcast:7 row_mask:0xf bank_mask:0xf// 000000007E24: 0BD7D6FA FF01570D
	v_mul_f32_e32 v232, v20, v232                              // 000000007E2C: 0BD1D114
	v_mul_f32_e32 v233, v20, v233                              // 000000007E30: 0BD3D314
	v_mul_f32_e32 v234, v20, v234                              // 000000007E34: 0BD5D514
	v_mul_f32_e32 v235, v20, v235                              // 000000007E38: 0BD7D714
	v_cvt_f32_i32_e32 v236, v236                               // 000000007E3C: 7FD80BEC
	v_cvt_f32_i32_e32 v237, v237                               // 000000007E40: 7FDA0BED
	v_cvt_f32_i32_e32 v238, v238                               // 000000007E44: 7FDC0BEE
	v_cvt_f32_i32_e32 v239, v239                               // 000000007E48: 7FDE0BEF
	v_mul_f32_e32 v236, v25, v236                              // 000000007E4C: 0BD9D919
	v_mul_f32_e32 v237, v25, v237                              // 000000007E50: 0BDBDB19
	v_mul_f32_e32 v238, v25, v238                              // 000000007E54: 0BDDDD19
	v_mul_f32_e32 v239, v25, v239                              // 000000007E58: 0BDFDF19
	v_mul_f32_dpp v236, v13, v236 row_newbcast:4 row_mask:0xf bank_mask:0xf// 000000007E5C: 0BD9D8FA FF01540D
	v_mul_f32_dpp v237, v13, v237 row_newbcast:5 row_mask:0xf bank_mask:0xf// 000000007E64: 0BDBDAFA FF01550D
	v_mul_f32_dpp v238, v13, v238 row_newbcast:6 row_mask:0xf bank_mask:0xf// 000000007E6C: 0BDDDCFA FF01560D
	v_mul_f32_dpp v239, v13, v239 row_newbcast:7 row_mask:0xf bank_mask:0xf// 000000007E74: 0BDFDEFA FF01570D
	v_mul_f32_e32 v236, v21, v236                              // 000000007E7C: 0BD9D915
	v_mul_f32_e32 v237, v21, v237                              // 000000007E80: 0BDBDB15
	v_mul_f32_e32 v238, v21, v238                              // 000000007E84: 0BDDDD15
	v_mul_f32_e32 v239, v21, v239                              // 000000007E88: 0BDFDF15
	v_cvt_f32_i32_e32 v240, v240                               // 000000007E8C: 7FE00BF0
	v_cvt_f32_i32_e32 v241, v241                               // 000000007E90: 7FE20BF1
	v_cvt_f32_i32_e32 v242, v242                               // 000000007E94: 7FE40BF2
	v_cvt_f32_i32_e32 v243, v243                               // 000000007E98: 7FE60BF3
	v_mul_f32_e32 v240, v24, v240                              // 000000007E9C: 0BE1E118
	v_mul_f32_e32 v241, v24, v241                              // 000000007EA0: 0BE3E318
	v_mul_f32_e32 v242, v24, v242                              // 000000007EA4: 0BE5E518
	v_mul_f32_e32 v243, v24, v243                              // 000000007EA8: 0BE7E718
	v_mul_f32_dpp v240, v13, v240 row_newbcast:8 row_mask:0xf bank_mask:0xf// 000000007EAC: 0BE1E0FA FF01580D
	v_mul_f32_dpp v241, v13, v241 row_newbcast:9 row_mask:0xf bank_mask:0xf// 000000007EB4: 0BE3E2FA FF01590D
	v_mul_f32_dpp v242, v13, v242 row_newbcast:10 row_mask:0xf bank_mask:0xf// 000000007EBC: 0BE5E4FA FF015A0D
	v_mul_f32_dpp v243, v13, v243 row_newbcast:11 row_mask:0xf bank_mask:0xf// 000000007EC4: 0BE7E6FA FF015B0D
	v_mul_f32_e32 v240, v20, v240                              // 000000007ECC: 0BE1E114
	v_mul_f32_e32 v241, v20, v241                              // 000000007ED0: 0BE3E314
	v_mul_f32_e32 v242, v20, v242                              // 000000007ED4: 0BE5E514
	v_mul_f32_e32 v243, v20, v243                              // 000000007ED8: 0BE7E714
	v_cvt_f32_i32_e32 v244, v244                               // 000000007EDC: 7FE80BF4
	v_cvt_f32_i32_e32 v245, v245                               // 000000007EE0: 7FEA0BF5
	v_cvt_f32_i32_e32 v246, v246                               // 000000007EE4: 7FEC0BF6
	v_cvt_f32_i32_e32 v247, v247                               // 000000007EE8: 7FEE0BF7
	v_mul_f32_e32 v244, v25, v244                              // 000000007EEC: 0BE9E919
	v_mul_f32_e32 v245, v25, v245                              // 000000007EF0: 0BEBEB19
	v_mul_f32_e32 v246, v25, v246                              // 000000007EF4: 0BEDED19
	v_mul_f32_e32 v247, v25, v247                              // 000000007EF8: 0BEFEF19
	v_mul_f32_dpp v244, v13, v244 row_newbcast:8 row_mask:0xf bank_mask:0xf// 000000007EFC: 0BE9E8FA FF01580D
	v_mul_f32_dpp v245, v13, v245 row_newbcast:9 row_mask:0xf bank_mask:0xf// 000000007F04: 0BEBEAFA FF01590D
	v_mul_f32_dpp v246, v13, v246 row_newbcast:10 row_mask:0xf bank_mask:0xf// 000000007F0C: 0BEDECFA FF015A0D
	v_mul_f32_dpp v247, v13, v247 row_newbcast:11 row_mask:0xf bank_mask:0xf// 000000007F14: 0BEFEEFA FF015B0D
	v_mul_f32_e32 v244, v21, v244                              // 000000007F1C: 0BE9E915
	v_mul_f32_e32 v245, v21, v245                              // 000000007F20: 0BEBEB15
	v_mul_f32_e32 v246, v21, v246                              // 000000007F24: 0BEDED15
	v_mul_f32_e32 v247, v21, v247                              // 000000007F28: 0BEFEF15
	v_cvt_f32_i32_e32 v248, v248                               // 000000007F2C: 7FF00BF8
	v_cvt_f32_i32_e32 v249, v249                               // 000000007F30: 7FF20BF9
	v_cvt_f32_i32_e32 v250, v250                               // 000000007F34: 7FF40BFA
	v_cvt_f32_i32_e32 v251, v251                               // 000000007F38: 7FF60BFB
	v_mul_f32_e32 v248, v24, v248                              // 000000007F3C: 0BF1F118
	v_mul_f32_e32 v249, v24, v249                              // 000000007F40: 0BF3F318
	v_mul_f32_e32 v250, v24, v250                              // 000000007F44: 0BF5F518
	v_mul_f32_e32 v251, v24, v251                              // 000000007F48: 0BF7F718
	v_mul_f32_dpp v248, v13, v248 row_newbcast:12 row_mask:0xf bank_mask:0xf// 000000007F4C: 0BF1F0FA FF015C0D
	v_mul_f32_dpp v249, v13, v249 row_newbcast:13 row_mask:0xf bank_mask:0xf// 000000007F54: 0BF3F2FA FF015D0D
	v_mul_f32_dpp v250, v13, v250 row_newbcast:14 row_mask:0xf bank_mask:0xf// 000000007F5C: 0BF5F4FA FF015E0D
	v_mul_f32_dpp v251, v13, v251 row_newbcast:15 row_mask:0xf bank_mask:0xf// 000000007F64: 0BF7F6FA FF015F0D
	v_mul_f32_e32 v248, v20, v248                              // 000000007F6C: 0BF1F114
	v_mul_f32_e32 v249, v20, v249                              // 000000007F70: 0BF3F314
	v_mul_f32_e32 v250, v20, v250                              // 000000007F74: 0BF5F514
	v_mul_f32_e32 v251, v20, v251                              // 000000007F78: 0BF7F714
	v_cvt_f32_i32_e32 v252, v252                               // 000000007F7C: 7FF80BFC
	v_cvt_f32_i32_e32 v253, v253                               // 000000007F80: 7FFA0BFD
	v_cvt_f32_i32_e32 v254, v254                               // 000000007F84: 7FFC0BFE
	v_cvt_f32_i32_e32 v255, v255                               // 000000007F88: 7FFE0BFF
	v_mul_f32_e32 v252, v25, v252                              // 000000007F8C: 0BF9F919
	v_mul_f32_e32 v253, v25, v253                              // 000000007F90: 0BFBFB19
	v_mul_f32_e32 v254, v25, v254                              // 000000007F94: 0BFDFD19
	v_mul_f32_e32 v255, v25, v255                              // 000000007F98: 0BFFFF19
	v_mul_f32_dpp v252, v13, v252 row_newbcast:12 row_mask:0xf bank_mask:0xf// 000000007F9C: 0BF9F8FA FF015C0D
	v_mul_f32_dpp v253, v13, v253 row_newbcast:13 row_mask:0xf bank_mask:0xf// 000000007FA4: 0BFBFAFA FF015D0D
	v_mul_f32_dpp v254, v13, v254 row_newbcast:14 row_mask:0xf bank_mask:0xf// 000000007FAC: 0BFDFCFA FF015E0D
	v_mul_f32_dpp v255, v13, v255 row_newbcast:15 row_mask:0xf bank_mask:0xf// 000000007FB4: 0BFFFEFA FF015F0D
	v_mul_f32_e32 v252, v21, v252                              // 000000007FBC: 0BF9F915
	v_mul_f32_e32 v253, v21, v253                              // 000000007FC0: 0BFBFB15
	v_mul_f32_e32 v254, v21, v254                              // 000000007FC4: 0BFDFD15
	v_mul_f32_e32 v255, v21, v255                              // 000000007FC8: 0BFFFF15
	v_cmp_u_f32_e64 s[48:49], v224, v224                       // 000000007FCC: D0480030 0003C1E0
	v_add3_u32 v46, v224, v49, 1                               // 000000007FD4: D1FF002E 020663E0
	v_cndmask_b32_e64 v52, v46, v48, s[48:49]                  // 000000007FDC: D1000034 00C2612E
	v_cmp_u_f32_e64 s[48:49], v225, v225                       // 000000007FE4: D0480030 0003C3E1
	v_add3_u32 v46, v225, v49, 1                               // 000000007FEC: D1FF002E 020663E1
	v_cndmask_b32_e64 v53, v46, v48, s[48:49]                  // 000000007FF4: D1000035 00C2612E
	v_perm_b32 v224, v53, v52, s52                             // 000000007FFC: D1ED00E0 00D26935
	v_cmp_u_f32_e64 s[48:49], v226, v226                       // 000000008004: D0480030 0003C5E2
	v_add3_u32 v46, v226, v49, 1                               // 00000000800C: D1FF002E 020663E2
	v_cndmask_b32_e64 v52, v46, v48, s[48:49]                  // 000000008014: D1000034 00C2612E
	v_cmp_u_f32_e64 s[48:49], v227, v227                       // 00000000801C: D0480030 0003C7E3
	v_add3_u32 v46, v227, v49, 1                               // 000000008024: D1FF002E 020663E3
	v_cndmask_b32_e64 v53, v46, v48, s[48:49]                  // 00000000802C: D1000035 00C2612E
	v_perm_b32 v225, v53, v52, s52                             // 000000008034: D1ED00E1 00D26935
	v_cmp_u_f32_e64 s[48:49], v228, v228                       // 00000000803C: D0480030 0003C9E4
	v_add3_u32 v46, v228, v49, 1                               // 000000008044: D1FF002E 020663E4
	v_cndmask_b32_e64 v52, v46, v48, s[48:49]                  // 00000000804C: D1000034 00C2612E
	v_cmp_u_f32_e64 s[48:49], v229, v229                       // 000000008054: D0480030 0003CBE5
	v_add3_u32 v46, v229, v49, 1                               // 00000000805C: D1FF002E 020663E5
	v_cndmask_b32_e64 v53, v46, v48, s[48:49]                  // 000000008064: D1000035 00C2612E
	v_perm_b32 v226, v53, v52, s52                             // 00000000806C: D1ED00E2 00D26935
	v_cmp_u_f32_e64 s[48:49], v230, v230                       // 000000008074: D0480030 0003CDE6
	v_add3_u32 v46, v230, v49, 1                               // 00000000807C: D1FF002E 020663E6
	v_cndmask_b32_e64 v52, v46, v48, s[48:49]                  // 000000008084: D1000034 00C2612E
	v_cmp_u_f32_e64 s[48:49], v231, v231                       // 00000000808C: D0480030 0003CFE7
	v_add3_u32 v46, v231, v49, 1                               // 000000008094: D1FF002E 020663E7
	v_cndmask_b32_e64 v53, v46, v48, s[48:49]                  // 00000000809C: D1000035 00C2612E
	v_perm_b32 v227, v53, v52, s52                             // 0000000080A4: D1ED00E3 00D26935
	v_cmp_u_f32_e64 s[48:49], v232, v232                       // 0000000080AC: D0480030 0003D1E8
	v_add3_u32 v46, v232, v49, 1                               // 0000000080B4: D1FF002E 020663E8
	v_cndmask_b32_e64 v52, v46, v48, s[48:49]                  // 0000000080BC: D1000034 00C2612E
	v_cmp_u_f32_e64 s[48:49], v233, v233                       // 0000000080C4: D0480030 0003D3E9
	v_add3_u32 v46, v233, v49, 1                               // 0000000080CC: D1FF002E 020663E9
	v_cndmask_b32_e64 v53, v46, v48, s[48:49]                  // 0000000080D4: D1000035 00C2612E
	v_perm_b32 v228, v53, v52, s52                             // 0000000080DC: D1ED00E4 00D26935
	v_cmp_u_f32_e64 s[48:49], v234, v234                       // 0000000080E4: D0480030 0003D5EA
	v_add3_u32 v46, v234, v49, 1                               // 0000000080EC: D1FF002E 020663EA
	v_cndmask_b32_e64 v52, v46, v48, s[48:49]                  // 0000000080F4: D1000034 00C2612E
	v_cmp_u_f32_e64 s[48:49], v235, v235                       // 0000000080FC: D0480030 0003D7EB
	v_add3_u32 v46, v235, v49, 1                               // 000000008104: D1FF002E 020663EB
	v_cndmask_b32_e64 v53, v46, v48, s[48:49]                  // 00000000810C: D1000035 00C2612E
	v_perm_b32 v229, v53, v52, s52                             // 000000008114: D1ED00E5 00D26935
	v_cmp_u_f32_e64 s[48:49], v236, v236                       // 00000000811C: D0480030 0003D9EC
	v_add3_u32 v46, v236, v49, 1                               // 000000008124: D1FF002E 020663EC
	v_cndmask_b32_e64 v52, v46, v48, s[48:49]                  // 00000000812C: D1000034 00C2612E
	v_cmp_u_f32_e64 s[48:49], v237, v237                       // 000000008134: D0480030 0003DBED
	v_add3_u32 v46, v237, v49, 1                               // 00000000813C: D1FF002E 020663ED
	v_cndmask_b32_e64 v53, v46, v48, s[48:49]                  // 000000008144: D1000035 00C2612E
	v_perm_b32 v230, v53, v52, s52                             // 00000000814C: D1ED00E6 00D26935
	v_cmp_u_f32_e64 s[48:49], v238, v238                       // 000000008154: D0480030 0003DDEE
	v_add3_u32 v46, v238, v49, 1                               // 00000000815C: D1FF002E 020663EE
	v_cndmask_b32_e64 v52, v46, v48, s[48:49]                  // 000000008164: D1000034 00C2612E
	v_cmp_u_f32_e64 s[48:49], v239, v239                       // 00000000816C: D0480030 0003DFEF
	v_add3_u32 v46, v239, v49, 1                               // 000000008174: D1FF002E 020663EF
	v_cndmask_b32_e64 v53, v46, v48, s[48:49]                  // 00000000817C: D1000035 00C2612E
	v_perm_b32 v231, v53, v52, s52                             // 000000008184: D1ED00E7 00D26935
	v_cmp_u_f32_e64 s[48:49], v240, v240                       // 00000000818C: D0480030 0003E1F0
	v_add3_u32 v46, v240, v49, 1                               // 000000008194: D1FF002E 020663F0
	v_cndmask_b32_e64 v52, v46, v48, s[48:49]                  // 00000000819C: D1000034 00C2612E
	v_cmp_u_f32_e64 s[48:49], v241, v241                       // 0000000081A4: D0480030 0003E3F1
	v_add3_u32 v46, v241, v49, 1                               // 0000000081AC: D1FF002E 020663F1
	v_cndmask_b32_e64 v53, v46, v48, s[48:49]                  // 0000000081B4: D1000035 00C2612E
	v_perm_b32 v232, v53, v52, s52                             // 0000000081BC: D1ED00E8 00D26935
	v_cmp_u_f32_e64 s[48:49], v242, v242                       // 0000000081C4: D0480030 0003E5F2
	v_add3_u32 v46, v242, v49, 1                               // 0000000081CC: D1FF002E 020663F2
	v_cndmask_b32_e64 v52, v46, v48, s[48:49]                  // 0000000081D4: D1000034 00C2612E
	v_cmp_u_f32_e64 s[48:49], v243, v243                       // 0000000081DC: D0480030 0003E7F3
	v_add3_u32 v46, v243, v49, 1                               // 0000000081E4: D1FF002E 020663F3
	v_cndmask_b32_e64 v53, v46, v48, s[48:49]                  // 0000000081EC: D1000035 00C2612E
	v_perm_b32 v233, v53, v52, s52                             // 0000000081F4: D1ED00E9 00D26935
	v_cmp_u_f32_e64 s[48:49], v244, v244                       // 0000000081FC: D0480030 0003E9F4
	v_add3_u32 v46, v244, v49, 1                               // 000000008204: D1FF002E 020663F4
	v_cndmask_b32_e64 v52, v46, v48, s[48:49]                  // 00000000820C: D1000034 00C2612E
	v_cmp_u_f32_e64 s[48:49], v245, v245                       // 000000008214: D0480030 0003EBF5
	v_add3_u32 v46, v245, v49, 1                               // 00000000821C: D1FF002E 020663F5
	v_cndmask_b32_e64 v53, v46, v48, s[48:49]                  // 000000008224: D1000035 00C2612E
	v_perm_b32 v234, v53, v52, s52                             // 00000000822C: D1ED00EA 00D26935
	v_cmp_u_f32_e64 s[48:49], v246, v246                       // 000000008234: D0480030 0003EDF6
	v_add3_u32 v46, v246, v49, 1                               // 00000000823C: D1FF002E 020663F6
	v_cndmask_b32_e64 v52, v46, v48, s[48:49]                  // 000000008244: D1000034 00C2612E
	v_cmp_u_f32_e64 s[48:49], v247, v247                       // 00000000824C: D0480030 0003EFF7
	v_add3_u32 v46, v247, v49, 1                               // 000000008254: D1FF002E 020663F7
	v_cndmask_b32_e64 v53, v46, v48, s[48:49]                  // 00000000825C: D1000035 00C2612E
	v_perm_b32 v235, v53, v52, s52                             // 000000008264: D1ED00EB 00D26935
	v_cmp_u_f32_e64 s[48:49], v248, v248                       // 00000000826C: D0480030 0003F1F8
	v_add3_u32 v46, v248, v49, 1                               // 000000008274: D1FF002E 020663F8
	v_cndmask_b32_e64 v52, v46, v48, s[48:49]                  // 00000000827C: D1000034 00C2612E
	v_cmp_u_f32_e64 s[48:49], v249, v249                       // 000000008284: D0480030 0003F3F9
	v_add3_u32 v46, v249, v49, 1                               // 00000000828C: D1FF002E 020663F9
	v_cndmask_b32_e64 v53, v46, v48, s[48:49]                  // 000000008294: D1000035 00C2612E
	v_perm_b32 v236, v53, v52, s52                             // 00000000829C: D1ED00EC 00D26935
	v_cmp_u_f32_e64 s[48:49], v250, v250                       // 0000000082A4: D0480030 0003F5FA
	v_add3_u32 v46, v250, v49, 1                               // 0000000082AC: D1FF002E 020663FA
	v_cndmask_b32_e64 v52, v46, v48, s[48:49]                  // 0000000082B4: D1000034 00C2612E
	v_cmp_u_f32_e64 s[48:49], v251, v251                       // 0000000082BC: D0480030 0003F7FB
	v_add3_u32 v46, v251, v49, 1                               // 0000000082C4: D1FF002E 020663FB
	v_cndmask_b32_e64 v53, v46, v48, s[48:49]                  // 0000000082CC: D1000035 00C2612E
	v_perm_b32 v237, v53, v52, s52                             // 0000000082D4: D1ED00ED 00D26935
	v_cmp_u_f32_e64 s[48:49], v252, v252                       // 0000000082DC: D0480030 0003F9FC
	v_add3_u32 v46, v252, v49, 1                               // 0000000082E4: D1FF002E 020663FC
	v_cndmask_b32_e64 v52, v46, v48, s[48:49]                  // 0000000082EC: D1000034 00C2612E
	v_cmp_u_f32_e64 s[48:49], v253, v253                       // 0000000082F4: D0480030 0003FBFD
	v_add3_u32 v46, v253, v49, 1                               // 0000000082FC: D1FF002E 020663FD
	v_cndmask_b32_e64 v53, v46, v48, s[48:49]                  // 000000008304: D1000035 00C2612E
	v_perm_b32 v238, v53, v52, s52                             // 00000000830C: D1ED00EE 00D26935
	v_cmp_u_f32_e64 s[48:49], v254, v254                       // 000000008314: D0480030 0003FDFE
	v_add3_u32 v46, v254, v49, 1                               // 00000000831C: D1FF002E 020663FE
	v_cndmask_b32_e64 v52, v46, v48, s[48:49]                  // 000000008324: D1000034 00C2612E
	v_cmp_u_f32_e64 s[48:49], v255, v255                       // 00000000832C: D0480030 0003FFFF
	v_add3_u32 v46, v255, v49, 1                               // 000000008334: D1FF002E 020663FF
	v_cndmask_b32_e64 v53, v46, v48, s[48:49]                  // 00000000833C: D1000035 00C2612E
	v_perm_b32 v239, v53, v52, s52                             // 000000008344: D1ED00EF 00D26935
	ds_write_b64 v3, v[224:225] offset:35072                   // 00000000834C: D89A8900 0000E003
	ds_write_b64 v3, v[226:227] offset:43776                   // 000000008354: D89AAB00 0000E203
	ds_write_b64 v3, v[228:229] offset:37248                   // 00000000835C: D89A9180 0000E403
	ds_write_b64 v3, v[230:231] offset:45952                   // 000000008364: D89AB380 0000E603
	ds_write_b64 v3, v[232:233] offset:39424                   // 00000000836C: D89A9A00 0000E803
	ds_write_b64 v3, v[234:235] offset:48128                   // 000000008374: D89ABC00 0000EA03
	ds_write_b64 v3, v[236:237] offset:41600                   // 00000000837C: D89AA280 0000EC03
	ds_write_b64 v3, v[238:239] offset:50304                   // 000000008384: D89AC480 0000EE03
	s_waitcnt lgkmcnt(0)                                       // 00000000838C: BF8CC07F
	s_barrier                                                  // 000000008390: BF8A0000
	ds_read_b32 v64, v4 offset:35072                           // 000000008394: D86C8900 40000004
	ds_read_b32 v65, v4 offset:39424                           // 00000000839C: D86C9A00 41000004
	ds_read_b32 v66, v4 offset:35104                           // 0000000083A4: D86C8920 42000004
	ds_read_b32 v67, v4 offset:39456                           // 0000000083AC: D86C9A20 43000004
	ds_read_b32 v68, v4 offset:35136                           // 0000000083B4: D86C8940 44000004
	ds_read_b32 v69, v4 offset:39488                           // 0000000083BC: D86C9A40 45000004
	ds_read_b32 v70, v4 offset:35168                           // 0000000083C4: D86C8960 46000004
	ds_read_b32 v71, v4 offset:39520                           // 0000000083CC: D86C9A60 47000004
	ds_read_b32 v72, v4 offset:43776                           // 0000000083D4: D86CAB00 48000004
	ds_read_b32 v73, v4 offset:48128                           // 0000000083DC: D86CBC00 49000004
	ds_read_b32 v74, v4 offset:43808                           // 0000000083E4: D86CAB20 4A000004
	ds_read_b32 v75, v4 offset:48160                           // 0000000083EC: D86CBC20 4B000004
	ds_read_b32 v76, v4 offset:43840                           // 0000000083F4: D86CAB40 4C000004
	ds_read_b32 v77, v4 offset:48192                           // 0000000083FC: D86CBC40 4D000004
	ds_read_b32 v78, v4 offset:43872                           // 000000008404: D86CAB60 4E000004
	ds_read_b32 v79, v4 offset:48224                           // 00000000840C: D86CBC60 4F000004
	s_waitcnt lgkmcnt(0)                                       // 000000008414: BF8CC07F
	s_mov_b64 exec, s[20:21]                                   // 000000008418: BEFE0114
	global_atomic_pk_add_bf16 v80, v64, s[8:9]                 // 00000000841C: DD488000 00084050
	s_mov_b64 exec, s[36:37]                                   // 000000008424: BEFE0124
	s_mov_b64 exec, s[20:21]                                   // 000000008428: BEFE0114
	global_atomic_pk_add_bf16 v80, v65, s[8:9] offset:256      // 00000000842C: DD488100 00084150
	s_mov_b64 exec, s[36:37]                                   // 000000008434: BEFE0124
	s_mov_b64 exec, s[22:23]                                   // 000000008438: BEFE0116
	global_atomic_pk_add_bf16 v82, v66, s[8:9]                 // 00000000843C: DD488000 00084252
	s_mov_b64 exec, s[36:37]                                   // 000000008444: BEFE0124
	s_mov_b64 exec, s[22:23]                                   // 000000008448: BEFE0116
	global_atomic_pk_add_bf16 v82, v67, s[8:9] offset:256      // 00000000844C: DD488100 00084352
	s_mov_b64 exec, s[36:37]                                   // 000000008454: BEFE0124
	s_mov_b64 exec, s[24:25]                                   // 000000008458: BEFE0118
	global_atomic_pk_add_bf16 v84, v68, s[8:9]                 // 00000000845C: DD488000 00084454
	s_mov_b64 exec, s[36:37]                                   // 000000008464: BEFE0124
	s_mov_b64 exec, s[24:25]                                   // 000000008468: BEFE0118
	global_atomic_pk_add_bf16 v84, v69, s[8:9] offset:256      // 00000000846C: DD488100 00084554
	s_mov_b64 exec, s[36:37]                                   // 000000008474: BEFE0124
	s_mov_b64 exec, s[26:27]                                   // 000000008478: BEFE011A
	global_atomic_pk_add_bf16 v86, v70, s[8:9]                 // 00000000847C: DD488000 00084656
	s_mov_b64 exec, s[36:37]                                   // 000000008484: BEFE0124
	s_mov_b64 exec, s[26:27]                                   // 000000008488: BEFE011A
	global_atomic_pk_add_bf16 v86, v71, s[8:9] offset:256      // 00000000848C: DD488100 00084756
	s_mov_b64 exec, s[36:37]                                   // 000000008494: BEFE0124
	s_mov_b64 exec, s[28:29]                                   // 000000008498: BEFE011C
	global_atomic_pk_add_bf16 v88, v72, s[8:9]                 // 00000000849C: DD488000 00084858
	s_mov_b64 exec, s[36:37]                                   // 0000000084A4: BEFE0124
	s_mov_b64 exec, s[28:29]                                   // 0000000084A8: BEFE011C
	global_atomic_pk_add_bf16 v88, v73, s[8:9] offset:256      // 0000000084AC: DD488100 00084958
	s_mov_b64 exec, s[36:37]                                   // 0000000084B4: BEFE0124
	s_mov_b64 exec, s[30:31]                                   // 0000000084B8: BEFE011E
	global_atomic_pk_add_bf16 v90, v74, s[8:9]                 // 0000000084BC: DD488000 00084A5A
	s_mov_b64 exec, s[36:37]                                   // 0000000084C4: BEFE0124
	s_mov_b64 exec, s[30:31]                                   // 0000000084C8: BEFE011E
	global_atomic_pk_add_bf16 v90, v75, s[8:9] offset:256      // 0000000084CC: DD488100 00084B5A
	s_mov_b64 exec, s[36:37]                                   // 0000000084D4: BEFE0124
	s_mov_b64 exec, s[32:33]                                   // 0000000084D8: BEFE0120
	global_atomic_pk_add_bf16 v92, v76, s[8:9]                 // 0000000084DC: DD488000 00084C5C
	s_mov_b64 exec, s[36:37]                                   // 0000000084E4: BEFE0124
	s_mov_b64 exec, s[32:33]                                   // 0000000084E8: BEFE0120
	global_atomic_pk_add_bf16 v92, v77, s[8:9] offset:256      // 0000000084EC: DD488100 00084D5C
	s_mov_b64 exec, s[36:37]                                   // 0000000084F4: BEFE0124
	s_mov_b64 exec, s[34:35]                                   // 0000000084F8: BEFE0122
	global_atomic_pk_add_bf16 v94, v78, s[8:9]                 // 0000000084FC: DD488000 00084E5E
	s_mov_b64 exec, s[36:37]                                   // 000000008504: BEFE0124
	s_mov_b64 exec, s[34:35]                                   // 000000008508: BEFE0122
	global_atomic_pk_add_bf16 v94, v79, s[8:9] offset:256      // 00000000850C: DD488100 00084F5E
	s_mov_b64 exec, s[36:37]                                   // 000000008514: BEFE0124
	s_add_u32 s8, s59, s8                                      // 000000008518: 8008083B
	s_addc_u32 s9, 0, s9                                       // 00000000851C: 82090980
	s_addk_i32 s80, 0x100                                      // 000000008520: B7500100
	s_cmp_lt_i32 s80, s81                                      // 000000008524: BF045150
	s_cbranch_scc0 label_15CC                                  // 000000008528: BF840001
	s_branch label_0F15                                        // 00000000852C: BF82F949

0000000000008530 <label_15CC>:
	s_nop 0                                                    // 000000008530: BF800000
	s_nop 0                                                    // 000000008534: BF800000
	s_branch label_28A5                                        // 000000008538: BF8212D6

000000000000853c <label_15CF>:
	s_waitcnt vmcnt(24) lgkmcnt(0)                             // 00000000853C: BF8C4078
	s_barrier                                                  // 000000008540: BF8A0000
	v_mfma_i32_16x16x32_i8 v[128:131], a[0:1], v[192:193], v[128:131]// 000000008544: D3D70080 0E038100
	buffer_load_dwordx4 a[128:131], v34, s[92:95], 0 offen     // 00000000854C: E05C1000 80978022
	v_mfma_i32_16x16x32_i8 v[128:131], a[2:3], v[194:195], v[128:131]// 000000008554: D3D70080 0E038502
	v_mfma_i32_16x16x32_i8 v[128:131], a[4:5], v[196:197], v[128:131]// 00000000855C: D3D70080 0E038904
	buffer_load_dword v26, s[20:23], 0 offen lds               // 000000008564: E0511000 8005001A
	s_add_u32 m0, 0x100, s51                                   // 00000000856C: 807C33FF 00000100
	v_mfma_i32_16x16x32_i8 v[128:131], a[6:7], v[198:199], v[128:131]// 000000008574: D3D70080 0E038D06
	v_mfma_i32_16x16x32_i8 v[128:131], a[8:9], v[200:201], v[128:131]// 00000000857C: D3D70080 0E039108
	buffer_load_dwordx4 a[132:135], v34, s[92:95], 0 offen offset:1024// 000000008584: E05C1400 80978422
	v_mfma_i32_16x16x32_i8 v[128:131], a[10:11], v[202:203], v[128:131]// 00000000858C: D3D70080 0E03950A
	v_mfma_i32_16x16x32_i8 v[128:131], a[12:13], v[204:205], v[128:131]// 000000008594: D3D70080 0E03990C
	buffer_load_dword v27, s[20:23], 0 offen lds               // 00000000859C: E0511000 8005001B
	s_add_u32 m0, 0x200, s51                                   // 0000000085A4: 807C33FF 00000200
	v_mfma_i32_16x16x32_i8 v[128:131], a[14:15], v[206:207], v[128:131]// 0000000085AC: D3D70080 0E039D0E
	v_mfma_i32_16x16x32_i8 v[132:135], a[0:1], v[208:209], v[132:135]// 0000000085B4: D3D70084 0E13A100
	buffer_load_dwordx4 a[136:139], v34, s[92:95], 0 offen offset:2048// 0000000085BC: E05C1800 80978822
	v_mfma_i32_16x16x32_i8 v[132:135], a[2:3], v[210:211], v[132:135]// 0000000085C4: D3D70084 0E13A502
	v_mfma_i32_16x16x32_i8 v[132:135], a[4:5], v[212:213], v[132:135]// 0000000085CC: D3D70084 0E13A904
	buffer_load_dword v28, s[20:23], 0 offen lds               // 0000000085D4: E0511000 8005001C
	s_add_u32 m0, 0x300, s51                                   // 0000000085DC: 807C33FF 00000300
	v_mfma_i32_16x16x32_i8 v[132:135], a[6:7], v[214:215], v[132:135]// 0000000085E4: D3D70084 0E13AD06
	v_mfma_i32_16x16x32_i8 v[132:135], a[8:9], v[216:217], v[132:135]// 0000000085EC: D3D70084 0E13B108
	buffer_load_dwordx4 a[140:143], v34, s[92:95], 0 offen offset:3072// 0000000085F4: E05C1C00 80978C22
	v_mfma_i32_16x16x32_i8 v[132:135], a[10:11], v[218:219], v[132:135]// 0000000085FC: D3D70084 0E13B50A
	v_mfma_i32_16x16x32_i8 v[132:135], a[12:13], v[220:221], v[132:135]// 000000008604: D3D70084 0E13B90C
	buffer_load_dword v29, s[20:23], 0 offen lds               // 00000000860C: E0511000 8005001D
	s_add_u32 m0, 0x400, s51                                   // 000000008614: 807C33FF 00000400
	v_mfma_i32_16x16x32_i8 v[132:135], a[14:15], v[222:223], v[132:135]// 00000000861C: D3D70084 0E13BD0E
	v_mfma_i32_16x16x32_i8 v[136:139], a[16:17], v[192:193], v[136:139]// 000000008624: D3D70088 0E238110
	buffer_load_dwordx4 a[144:147], v35, s[92:95], 0 offen     // 00000000862C: E05C1000 80979023
	v_mfma_i32_16x16x32_i8 v[136:139], a[18:19], v[194:195], v[136:139]// 000000008634: D3D70088 0E238512
	v_mfma_i32_16x16x32_i8 v[136:139], a[20:21], v[196:197], v[136:139]// 00000000863C: D3D70088 0E238914
	buffer_load_dword v30, s[20:23], 0 offen lds               // 000000008644: E0511000 8005001E
	s_add_u32 m0, 0x500, s51                                   // 00000000864C: 807C33FF 00000500
	v_mfma_i32_16x16x32_i8 v[136:139], a[22:23], v[198:199], v[136:139]// 000000008654: D3D70088 0E238D16
	v_mfma_i32_16x16x32_i8 v[136:139], a[24:25], v[200:201], v[136:139]// 00000000865C: D3D70088 0E239118
	buffer_load_dwordx4 a[148:151], v35, s[92:95], 0 offen offset:1024// 000000008664: E05C1400 80979423
	v_mfma_i32_16x16x32_i8 v[136:139], a[26:27], v[202:203], v[136:139]// 00000000866C: D3D70088 0E23951A
	v_mfma_i32_16x16x32_i8 v[136:139], a[28:29], v[204:205], v[136:139]// 000000008674: D3D70088 0E23991C
	buffer_load_dword v31, s[20:23], 0 offen lds               // 00000000867C: E0511000 8005001F
	s_add_u32 m0, 0x600, s51                                   // 000000008684: 807C33FF 00000600
	v_mfma_i32_16x16x32_i8 v[136:139], a[30:31], v[206:207], v[136:139]// 00000000868C: D3D70088 0E239D1E
	v_mfma_i32_16x16x32_i8 v[140:143], a[16:17], v[208:209], v[140:143]// 000000008694: D3D7008C 0E33A110
	buffer_load_dwordx4 a[152:155], v35, s[92:95], 0 offen offset:2048// 00000000869C: E05C1800 80979823
	v_mfma_i32_16x16x32_i8 v[140:143], a[18:19], v[210:211], v[140:143]// 0000000086A4: D3D7008C 0E33A512
	v_mfma_i32_16x16x32_i8 v[140:143], a[20:21], v[212:213], v[140:143]// 0000000086AC: D3D7008C 0E33A914
	buffer_load_dword v32, s[20:23], 0 offen lds               // 0000000086B4: E0511000 80050020
	s_add_u32 m0, 0x700, s51                                   // 0000000086BC: 807C33FF 00000700
	v_mfma_i32_16x16x32_i8 v[140:143], a[22:23], v[214:215], v[140:143]// 0000000086C4: D3D7008C 0E33AD16
	v_mfma_i32_16x16x32_i8 v[140:143], a[24:25], v[216:217], v[140:143]// 0000000086CC: D3D7008C 0E33B118
	buffer_load_dwordx4 a[156:159], v35, s[92:95], 0 offen offset:3072// 0000000086D4: E05C1C00 80979C23
	v_mfma_i32_16x16x32_i8 v[140:143], a[26:27], v[218:219], v[140:143]// 0000000086DC: D3D7008C 0E33B51A
	v_mfma_i32_16x16x32_i8 v[140:143], a[28:29], v[220:221], v[140:143]// 0000000086E4: D3D7008C 0E33B91C
	buffer_load_dword v33, s[20:23], 0 offen lds               // 0000000086EC: E0511000 80050021
	s_add_u32 m0, 0, s50                                       // 0000000086F4: 807C3280
	v_mfma_i32_16x16x32_i8 v[140:143], a[30:31], v[222:223], v[140:143]// 0000000086F8: D3D7008C 0E33BD1E
	s_waitcnt vmcnt(36)                                        // 000000008700: BF8C8F74
	v_mfma_i32_16x16x32_i8 v[144:147], a[32:33], v[192:193], v[144:147]// 000000008704: D3D70090 0E438120
	buffer_load_dwordx4 a[160:163], v36, s[92:95], 0 offen     // 00000000870C: E05C1000 8097A024
	v_mfma_i32_16x16x32_i8 v[144:147], a[34:35], v[194:195], v[144:147]// 000000008714: D3D70090 0E438522
	v_mfma_i32_16x16x32_i8 v[144:147], a[36:37], v[196:197], v[144:147]// 00000000871C: D3D70090 0E438924
	v_mfma_i32_16x16x32_i8 v[144:147], a[38:39], v[198:199], v[144:147]// 000000008724: D3D70090 0E438D26
	v_mfma_i32_16x16x32_i8 v[144:147], a[40:41], v[200:201], v[144:147]// 00000000872C: D3D70090 0E439128
	buffer_load_dwordx4 a[164:167], v36, s[92:95], 0 offen offset:1024// 000000008734: E05C1400 8097A424
	v_mfma_i32_16x16x32_i8 v[144:147], a[42:43], v[202:203], v[144:147]// 00000000873C: D3D70090 0E43952A
	v_mfma_i32_16x16x32_i8 v[144:147], a[44:45], v[204:205], v[144:147]// 000000008744: D3D70090 0E43992C
	v_mfma_i32_16x16x32_i8 v[144:147], a[46:47], v[206:207], v[144:147]// 00000000874C: D3D70090 0E439D2E
	v_mfma_i32_16x16x32_i8 v[148:151], a[32:33], v[208:209], v[148:151]// 000000008754: D3D70094 0E53A120
	buffer_load_dwordx4 a[168:171], v36, s[92:95], 0 offen offset:2048// 00000000875C: E05C1800 8097A824
	v_mfma_i32_16x16x32_i8 v[148:151], a[34:35], v[210:211], v[148:151]// 000000008764: D3D70094 0E53A522
	v_mfma_i32_16x16x32_i8 v[148:151], a[36:37], v[212:213], v[148:151]// 00000000876C: D3D70094 0E53A924
	v_mfma_i32_16x16x32_i8 v[148:151], a[38:39], v[214:215], v[148:151]// 000000008774: D3D70094 0E53AD26
	v_mfma_i32_16x16x32_i8 v[148:151], a[40:41], v[216:217], v[148:151]// 00000000877C: D3D70094 0E53B128
	buffer_load_dwordx4 a[172:175], v36, s[92:95], 0 offen offset:3072// 000000008784: E05C1C00 8097AC24
	v_mfma_i32_16x16x32_i8 v[148:151], a[42:43], v[218:219], v[148:151]// 00000000878C: D3D70094 0E53B52A
	v_mfma_i32_16x16x32_i8 v[148:151], a[44:45], v[220:221], v[148:151]// 000000008794: D3D70094 0E53B92C
	v_mfma_i32_16x16x32_i8 v[148:151], a[46:47], v[222:223], v[148:151]// 00000000879C: D3D70094 0E53BD2E
	s_waitcnt vmcnt(36)                                        // 0000000087A4: BF8C8F74
	v_mfma_i32_16x16x32_i8 v[152:155], a[48:49], v[192:193], v[152:155]// 0000000087A8: D3D70098 0E638130
	buffer_load_dwordx4 a[176:179], v37, s[92:95], 0 offen     // 0000000087B0: E05C1000 8097B025
	v_mfma_i32_16x16x32_i8 v[152:155], a[50:51], v[194:195], v[152:155]// 0000000087B8: D3D70098 0E638532
	v_mfma_i32_16x16x32_i8 v[152:155], a[52:53], v[196:197], v[152:155]// 0000000087C0: D3D70098 0E638934
	v_mfma_i32_16x16x32_i8 v[152:155], a[54:55], v[198:199], v[152:155]// 0000000087C8: D3D70098 0E638D36
	v_mfma_i32_16x16x32_i8 v[152:155], a[56:57], v[200:201], v[152:155]// 0000000087D0: D3D70098 0E639138
	buffer_load_dwordx4 a[180:183], v37, s[92:95], 0 offen offset:1024// 0000000087D8: E05C1400 8097B425
	v_mfma_i32_16x16x32_i8 v[152:155], a[58:59], v[202:203], v[152:155]// 0000000087E0: D3D70098 0E63953A
	v_mfma_i32_16x16x32_i8 v[152:155], a[60:61], v[204:205], v[152:155]// 0000000087E8: D3D70098 0E63993C
	v_mfma_i32_16x16x32_i8 v[152:155], a[62:63], v[206:207], v[152:155]// 0000000087F0: D3D70098 0E639D3E
	v_mfma_i32_16x16x32_i8 v[156:159], a[48:49], v[208:209], v[156:159]// 0000000087F8: D3D7009C 0E73A130
	buffer_load_dwordx4 a[184:187], v37, s[92:95], 0 offen offset:2048// 000000008800: E05C1800 8097B825
	v_mfma_i32_16x16x32_i8 v[156:159], a[50:51], v[210:211], v[156:159]// 000000008808: D3D7009C 0E73A532
	v_mfma_i32_16x16x32_i8 v[156:159], a[52:53], v[212:213], v[156:159]// 000000008810: D3D7009C 0E73A934
	v_mfma_i32_16x16x32_i8 v[156:159], a[54:55], v[214:215], v[156:159]// 000000008818: D3D7009C 0E73AD36
	v_mfma_i32_16x16x32_i8 v[156:159], a[56:57], v[216:217], v[156:159]// 000000008820: D3D7009C 0E73B138
	buffer_load_dwordx4 a[188:191], v37, s[92:95], 0 offen offset:3072// 000000008828: E05C1C00 8097BC25
	v_mfma_i32_16x16x32_i8 v[156:159], a[58:59], v[218:219], v[156:159]// 000000008830: D3D7009C 0E73B53A
	v_mfma_i32_16x16x32_i8 v[156:159], a[60:61], v[220:221], v[156:159]// 000000008838: D3D7009C 0E73B93C
	v_mfma_i32_16x16x32_i8 v[156:159], a[62:63], v[222:223], v[156:159]// 000000008840: D3D7009C 0E73BD3E
	s_waitcnt vmcnt(36)                                        // 000000008848: BF8C8F74
	v_mfma_i32_16x16x32_i8 v[160:163], a[64:65], v[192:193], v[160:163]// 00000000884C: D3D700A0 0E838140
	buffer_load_dwordx4 a[192:195], v38, s[92:95], 0 offen     // 000000008854: E05C1000 8097C026
	v_mfma_i32_16x16x32_i8 v[160:163], a[66:67], v[194:195], v[160:163]// 00000000885C: D3D700A0 0E838542
	v_mfma_i32_16x16x32_i8 v[160:163], a[68:69], v[196:197], v[160:163]// 000000008864: D3D700A0 0E838944
	v_mfma_i32_16x16x32_i8 v[160:163], a[70:71], v[198:199], v[160:163]// 00000000886C: D3D700A0 0E838D46
	v_mfma_i32_16x16x32_i8 v[160:163], a[72:73], v[200:201], v[160:163]// 000000008874: D3D700A0 0E839148
	buffer_load_dwordx4 a[196:199], v38, s[92:95], 0 offen offset:1024// 00000000887C: E05C1400 8097C426
	v_mfma_i32_16x16x32_i8 v[160:163], a[74:75], v[202:203], v[160:163]// 000000008884: D3D700A0 0E83954A
	v_mfma_i32_16x16x32_i8 v[160:163], a[76:77], v[204:205], v[160:163]// 00000000888C: D3D700A0 0E83994C
	v_mfma_i32_16x16x32_i8 v[160:163], a[78:79], v[206:207], v[160:163]// 000000008894: D3D700A0 0E839D4E
	v_mfma_i32_16x16x32_i8 v[164:167], a[64:65], v[208:209], v[164:167]// 00000000889C: D3D700A4 0E93A140
	buffer_load_dwordx4 a[200:203], v38, s[92:95], 0 offen offset:2048// 0000000088A4: E05C1800 8097C826
	v_mfma_i32_16x16x32_i8 v[164:167], a[66:67], v[210:211], v[164:167]// 0000000088AC: D3D700A4 0E93A542
	v_mfma_i32_16x16x32_i8 v[164:167], a[68:69], v[212:213], v[164:167]// 0000000088B4: D3D700A4 0E93A944
	v_mfma_i32_16x16x32_i8 v[164:167], a[70:71], v[214:215], v[164:167]// 0000000088BC: D3D700A4 0E93AD46
	v_mfma_i32_16x16x32_i8 v[164:167], a[72:73], v[216:217], v[164:167]// 0000000088C4: D3D700A4 0E93B148
	buffer_load_dwordx4 a[204:207], v38, s[92:95], 0 offen offset:3072// 0000000088CC: E05C1C00 8097CC26
	v_mfma_i32_16x16x32_i8 v[164:167], a[74:75], v[218:219], v[164:167]// 0000000088D4: D3D700A4 0E93B54A
	v_mfma_i32_16x16x32_i8 v[164:167], a[76:77], v[220:221], v[164:167]// 0000000088DC: D3D700A4 0E93B94C
	v_mfma_i32_16x16x32_i8 v[164:167], a[78:79], v[222:223], v[164:167]// 0000000088E4: D3D700A4 0E93BD4E
	s_waitcnt vmcnt(36)                                        // 0000000088EC: BF8C8F74
	v_mfma_i32_16x16x32_i8 v[168:171], a[80:81], v[192:193], v[168:171]// 0000000088F0: D3D700A8 0EA38150
	buffer_load_dwordx4 a[208:211], v39, s[92:95], 0 offen     // 0000000088F8: E05C1000 8097D027
	v_mfma_i32_16x16x32_i8 v[168:171], a[82:83], v[194:195], v[168:171]// 000000008900: D3D700A8 0EA38552
	v_mfma_i32_16x16x32_i8 v[168:171], a[84:85], v[196:197], v[168:171]// 000000008908: D3D700A8 0EA38954
	v_mfma_i32_16x16x32_i8 v[168:171], a[86:87], v[198:199], v[168:171]// 000000008910: D3D700A8 0EA38D56
	v_mfma_i32_16x16x32_i8 v[168:171], a[88:89], v[200:201], v[168:171]// 000000008918: D3D700A8 0EA39158
	buffer_load_dwordx4 a[212:215], v39, s[92:95], 0 offen offset:1024// 000000008920: E05C1400 8097D427
	v_mfma_i32_16x16x32_i8 v[168:171], a[90:91], v[202:203], v[168:171]// 000000008928: D3D700A8 0EA3955A
	v_mfma_i32_16x16x32_i8 v[168:171], a[92:93], v[204:205], v[168:171]// 000000008930: D3D700A8 0EA3995C
	v_mfma_i32_16x16x32_i8 v[168:171], a[94:95], v[206:207], v[168:171]// 000000008938: D3D700A8 0EA39D5E
	v_mfma_i32_16x16x32_i8 v[172:175], a[80:81], v[208:209], v[172:175]// 000000008940: D3D700AC 0EB3A150
	buffer_load_dwordx4 a[216:219], v39, s[92:95], 0 offen offset:2048// 000000008948: E05C1800 8097D827
	v_mfma_i32_16x16x32_i8 v[172:175], a[82:83], v[210:211], v[172:175]// 000000008950: D3D700AC 0EB3A552
	v_mfma_i32_16x16x32_i8 v[172:175], a[84:85], v[212:213], v[172:175]// 000000008958: D3D700AC 0EB3A954
	v_mfma_i32_16x16x32_i8 v[172:175], a[86:87], v[214:215], v[172:175]// 000000008960: D3D700AC 0EB3AD56
	v_mfma_i32_16x16x32_i8 v[172:175], a[88:89], v[216:217], v[172:175]// 000000008968: D3D700AC 0EB3B158
	buffer_load_dwordx4 a[220:223], v39, s[92:95], 0 offen offset:3072// 000000008970: E05C1C00 8097DC27
	v_mfma_i32_16x16x32_i8 v[172:175], a[90:91], v[218:219], v[172:175]// 000000008978: D3D700AC 0EB3B55A
	v_mfma_i32_16x16x32_i8 v[172:175], a[92:93], v[220:221], v[172:175]// 000000008980: D3D700AC 0EB3B95C
	v_mfma_i32_16x16x32_i8 v[172:175], a[94:95], v[222:223], v[172:175]// 000000008988: D3D700AC 0EB3BD5E
	s_waitcnt vmcnt(36)                                        // 000000008990: BF8C8F74
	v_mfma_i32_16x16x32_i8 v[176:179], a[96:97], v[192:193], v[176:179]// 000000008994: D3D700B0 0EC38160
	buffer_load_dwordx4 a[224:227], v40, s[92:95], 0 offen     // 00000000899C: E05C1000 8097E028
	v_mfma_i32_16x16x32_i8 v[176:179], a[98:99], v[194:195], v[176:179]// 0000000089A4: D3D700B0 0EC38562
	v_mfma_i32_16x16x32_i8 v[176:179], a[100:101], v[196:197], v[176:179]// 0000000089AC: D3D700B0 0EC38964
	v_mfma_i32_16x16x32_i8 v[176:179], a[102:103], v[198:199], v[176:179]// 0000000089B4: D3D700B0 0EC38D66
	v_mfma_i32_16x16x32_i8 v[176:179], a[104:105], v[200:201], v[176:179]// 0000000089BC: D3D700B0 0EC39168
	buffer_load_dwordx4 a[228:231], v40, s[92:95], 0 offen offset:1024// 0000000089C4: E05C1400 8097E428
	v_mfma_i32_16x16x32_i8 v[176:179], a[106:107], v[202:203], v[176:179]// 0000000089CC: D3D700B0 0EC3956A
	v_mfma_i32_16x16x32_i8 v[176:179], a[108:109], v[204:205], v[176:179]// 0000000089D4: D3D700B0 0EC3996C
	v_mfma_i32_16x16x32_i8 v[176:179], a[110:111], v[206:207], v[176:179]// 0000000089DC: D3D700B0 0EC39D6E
	v_mfma_i32_16x16x32_i8 v[180:183], a[96:97], v[208:209], v[180:183]// 0000000089E4: D3D700B4 0ED3A160
	buffer_load_dwordx4 a[232:235], v40, s[92:95], 0 offen offset:2048// 0000000089EC: E05C1800 8097E828
	v_mfma_i32_16x16x32_i8 v[180:183], a[98:99], v[210:211], v[180:183]// 0000000089F4: D3D700B4 0ED3A562
	v_mfma_i32_16x16x32_i8 v[180:183], a[100:101], v[212:213], v[180:183]// 0000000089FC: D3D700B4 0ED3A964
	v_mfma_i32_16x16x32_i8 v[180:183], a[102:103], v[214:215], v[180:183]// 000000008A04: D3D700B4 0ED3AD66
	v_mfma_i32_16x16x32_i8 v[180:183], a[104:105], v[216:217], v[180:183]// 000000008A0C: D3D700B4 0ED3B168
	buffer_load_dwordx4 a[236:239], v40, s[92:95], 0 offen offset:3072// 000000008A14: E05C1C00 8097EC28
	v_mfma_i32_16x16x32_i8 v[180:183], a[106:107], v[218:219], v[180:183]// 000000008A1C: D3D700B4 0ED3B56A
	v_mfma_i32_16x16x32_i8 v[180:183], a[108:109], v[220:221], v[180:183]// 000000008A24: D3D700B4 0ED3B96C
	v_mfma_i32_16x16x32_i8 v[180:183], a[110:111], v[222:223], v[180:183]// 000000008A2C: D3D700B4 0ED3BD6E
	s_waitcnt vmcnt(36)                                        // 000000008A34: BF8C8F74
	v_mfma_i32_16x16x32_i8 v[184:187], a[112:113], v[192:193], v[184:187]// 000000008A38: D3D700B8 0EE38170
	buffer_load_dwordx4 a[240:243], v41, s[92:95], 0 offen     // 000000008A40: E05C1000 8097F029
	v_mfma_i32_16x16x32_i8 v[184:187], a[114:115], v[194:195], v[184:187]// 000000008A48: D3D700B8 0EE38572
	v_mfma_i32_16x16x32_i8 v[184:187], a[116:117], v[196:197], v[184:187]// 000000008A50: D3D700B8 0EE38974
	v_mfma_i32_16x16x32_i8 v[184:187], a[118:119], v[198:199], v[184:187]// 000000008A58: D3D700B8 0EE38D76
	v_mfma_i32_16x16x32_i8 v[184:187], a[120:121], v[200:201], v[184:187]// 000000008A60: D3D700B8 0EE39178
	buffer_load_dwordx4 a[244:247], v41, s[92:95], 0 offen offset:1024// 000000008A68: E05C1400 8097F429
	v_mfma_i32_16x16x32_i8 v[184:187], a[122:123], v[202:203], v[184:187]// 000000008A70: D3D700B8 0EE3957A
	v_mfma_i32_16x16x32_i8 v[184:187], a[124:125], v[204:205], v[184:187]// 000000008A78: D3D700B8 0EE3997C
	v_mfma_i32_16x16x32_i8 v[184:187], a[126:127], v[206:207], v[184:187]// 000000008A80: D3D700B8 0EE39D7E
	v_mfma_i32_16x16x32_i8 v[188:191], a[112:113], v[208:209], v[188:191]// 000000008A88: D3D700BC 0EF3A170
	buffer_load_dwordx4 a[248:251], v41, s[92:95], 0 offen offset:2048// 000000008A90: E05C1800 8097F829
	v_mfma_i32_16x16x32_i8 v[188:191], a[114:115], v[210:211], v[188:191]// 000000008A98: D3D700BC 0EF3A572
	v_mfma_i32_16x16x32_i8 v[188:191], a[116:117], v[212:213], v[188:191]// 000000008AA0: D3D700BC 0EF3A974
	v_mfma_i32_16x16x32_i8 v[188:191], a[118:119], v[214:215], v[188:191]// 000000008AA8: D3D700BC 0EF3AD76
	v_mfma_i32_16x16x32_i8 v[188:191], a[120:121], v[216:217], v[188:191]// 000000008AB0: D3D700BC 0EF3B178
	buffer_load_dwordx4 a[252:255], v41, s[92:95], 0 offen offset:3072// 000000008AB8: E05C1C00 8097FC29
	v_mfma_i32_16x16x32_i8 v[188:191], a[122:123], v[218:219], v[188:191]// 000000008AC0: D3D700BC 0EF3B57A
	v_mfma_i32_16x16x32_i8 v[188:191], a[124:125], v[220:221], v[188:191]// 000000008AC8: D3D700BC 0EF3B97C
	v_mfma_i32_16x16x32_i8 v[188:191], a[126:127], v[222:223], v[188:191]// 000000008AD0: D3D700BC 0EF3BD7E
	s_waitcnt vmcnt(24)                                        // 000000008AD8: BF8C4F78
	s_barrier                                                  // 000000008ADC: BF8A0000
	v_mfma_i32_16x16x32_i8 v[64:67], a[128:129], v[192:193], v[64:67]// 000000008AE0: D3D70040 0D038180
	buffer_load_dwordx4 a[0:3], v34, s[24:27], 0 offen         // 000000008AE8: E05C1000 80860022
	v_mfma_i32_16x16x32_i8 v[64:67], a[130:131], v[194:195], v[64:67]// 000000008AF0: D3D70040 0D038582
	v_mfma_i32_16x16x32_i8 v[64:67], a[132:133], v[196:197], v[64:67]// 000000008AF8: D3D70040 0D038984
	v_mfma_i32_16x16x32_i8 v[64:67], a[134:135], v[198:199], v[64:67]// 000000008B00: D3D70040 0D038D86
	v_mfma_i32_16x16x32_i8 v[64:67], a[136:137], v[200:201], v[64:67]// 000000008B08: D3D70040 0D039188
	buffer_load_dwordx4 a[4:7], v34, s[24:27], 0 offen offset:1024// 000000008B10: E05C1400 80860422
	v_mfma_i32_16x16x32_i8 v[64:67], a[138:139], v[202:203], v[64:67]// 000000008B18: D3D70040 0D03958A
	v_mfma_i32_16x16x32_i8 v[64:67], a[140:141], v[204:205], v[64:67]// 000000008B20: D3D70040 0D03998C
	v_mfma_i32_16x16x32_i8 v[64:67], a[142:143], v[206:207], v[64:67]// 000000008B28: D3D70040 0D039D8E
	v_mfma_i32_16x16x32_i8 v[68:71], a[128:129], v[208:209], v[68:71]// 000000008B30: D3D70044 0D13A180
	buffer_load_dwordx4 a[8:11], v34, s[24:27], 0 offen offset:2048// 000000008B38: E05C1800 80860822
	v_mfma_i32_16x16x32_i8 v[68:71], a[130:131], v[210:211], v[68:71]// 000000008B40: D3D70044 0D13A582
	v_mfma_i32_16x16x32_i8 v[68:71], a[132:133], v[212:213], v[68:71]// 000000008B48: D3D70044 0D13A984
	v_mfma_i32_16x16x32_i8 v[68:71], a[134:135], v[214:215], v[68:71]// 000000008B50: D3D70044 0D13AD86
	v_mfma_i32_16x16x32_i8 v[68:71], a[136:137], v[216:217], v[68:71]// 000000008B58: D3D70044 0D13B188
	buffer_load_dwordx4 a[12:15], v34, s[24:27], 0 offen offset:3072// 000000008B60: E05C1C00 80860C22
	v_mfma_i32_16x16x32_i8 v[68:71], a[138:139], v[218:219], v[68:71]// 000000008B68: D3D70044 0D13B58A
	v_mfma_i32_16x16x32_i8 v[68:71], a[140:141], v[220:221], v[68:71]// 000000008B70: D3D70044 0D13B98C
	v_mfma_i32_16x16x32_i8 v[68:71], a[142:143], v[222:223], v[68:71]// 000000008B78: D3D70044 0D13BD8E
	v_mfma_i32_16x16x32_i8 v[72:75], a[144:145], v[192:193], v[72:75]// 000000008B80: D3D70048 0D238190
	buffer_load_dwordx4 a[16:19], v35, s[24:27], 0 offen       // 000000008B88: E05C1000 80861023
	v_mfma_i32_16x16x32_i8 v[72:75], a[146:147], v[194:195], v[72:75]// 000000008B90: D3D70048 0D238592
	v_mfma_i32_16x16x32_i8 v[72:75], a[148:149], v[196:197], v[72:75]// 000000008B98: D3D70048 0D238994
	v_mfma_i32_16x16x32_i8 v[72:75], a[150:151], v[198:199], v[72:75]// 000000008BA0: D3D70048 0D238D96
	v_mfma_i32_16x16x32_i8 v[72:75], a[152:153], v[200:201], v[72:75]// 000000008BA8: D3D70048 0D239198
	buffer_load_dwordx4 a[20:23], v35, s[24:27], 0 offen offset:1024// 000000008BB0: E05C1400 80861423
	v_mfma_i32_16x16x32_i8 v[72:75], a[154:155], v[202:203], v[72:75]// 000000008BB8: D3D70048 0D23959A
	v_mfma_i32_16x16x32_i8 v[72:75], a[156:157], v[204:205], v[72:75]// 000000008BC0: D3D70048 0D23999C
	v_mfma_i32_16x16x32_i8 v[72:75], a[158:159], v[206:207], v[72:75]// 000000008BC8: D3D70048 0D239D9E
	v_mfma_i32_16x16x32_i8 v[76:79], a[144:145], v[208:209], v[76:79]// 000000008BD0: D3D7004C 0D33A190
	buffer_load_dwordx4 a[24:27], v35, s[24:27], 0 offen offset:2048// 000000008BD8: E05C1800 80861823
	v_mfma_i32_16x16x32_i8 v[76:79], a[146:147], v[210:211], v[76:79]// 000000008BE0: D3D7004C 0D33A592
	v_mfma_i32_16x16x32_i8 v[76:79], a[148:149], v[212:213], v[76:79]// 000000008BE8: D3D7004C 0D33A994
	v_mfma_i32_16x16x32_i8 v[76:79], a[150:151], v[214:215], v[76:79]// 000000008BF0: D3D7004C 0D33AD96
	v_mfma_i32_16x16x32_i8 v[76:79], a[152:153], v[216:217], v[76:79]// 000000008BF8: D3D7004C 0D33B198
	buffer_load_dwordx4 a[28:31], v35, s[24:27], 0 offen offset:3072// 000000008C00: E05C1C00 80861C23
	v_mfma_i32_16x16x32_i8 v[76:79], a[154:155], v[218:219], v[76:79]// 000000008C08: D3D7004C 0D33B59A
	v_mfma_i32_16x16x32_i8 v[76:79], a[156:157], v[220:221], v[76:79]// 000000008C10: D3D7004C 0D33B99C
	v_mfma_i32_16x16x32_i8 v[76:79], a[158:159], v[222:223], v[76:79]// 000000008C18: D3D7004C 0D33BD9E
	s_waitcnt vmcnt(28)                                        // 000000008C20: BF8C4F7C
	v_mfma_i32_16x16x32_i8 v[80:83], a[160:161], v[192:193], v[80:83]// 000000008C24: D3D70050 0D4381A0
	buffer_load_dwordx4 a[32:35], v36, s[24:27], 0 offen       // 000000008C2C: E05C1000 80862024
	v_mfma_i32_16x16x32_i8 v[80:83], a[162:163], v[194:195], v[80:83]// 000000008C34: D3D70050 0D4385A2
	v_mfma_i32_16x16x32_i8 v[80:83], a[164:165], v[196:197], v[80:83]// 000000008C3C: D3D70050 0D4389A4
	ds_read_b128 v[224:227], v2 offset:8320                    // 000000008C44: D9FE2080 E0000002
	v_mfma_i32_16x16x32_i8 v[80:83], a[166:167], v[198:199], v[80:83]// 000000008C4C: D3D70050 0D438DA6
	v_mfma_i32_16x16x32_i8 v[80:83], a[168:169], v[200:201], v[80:83]// 000000008C54: D3D70050 0D4391A8
	buffer_load_dwordx4 a[36:39], v36, s[24:27], 0 offen offset:1024// 000000008C5C: E05C1400 80862424
	v_mfma_i32_16x16x32_i8 v[80:83], a[170:171], v[202:203], v[80:83]// 000000008C64: D3D70050 0D4395AA
	v_mfma_i32_16x16x32_i8 v[80:83], a[172:173], v[204:205], v[80:83]// 000000008C6C: D3D70050 0D4399AC
	ds_read_b128 v[228:231], v2 offset:8384                    // 000000008C74: D9FE20C0 E4000002
	v_mfma_i32_16x16x32_i8 v[80:83], a[174:175], v[206:207], v[80:83]// 000000008C7C: D3D70050 0D439DAE
	v_mfma_i32_16x16x32_i8 v[84:87], a[160:161], v[208:209], v[84:87]// 000000008C84: D3D70054 0D53A1A0
	buffer_load_dwordx4 a[40:43], v36, s[24:27], 0 offen offset:2048// 000000008C8C: E05C1800 80862824
	v_mfma_i32_16x16x32_i8 v[84:87], a[162:163], v[210:211], v[84:87]// 000000008C94: D3D70054 0D53A5A2
	v_mfma_i32_16x16x32_i8 v[84:87], a[164:165], v[212:213], v[84:87]// 000000008C9C: D3D70054 0D53A9A4
	ds_read_b128 v[232:235], v2 offset:8448                    // 000000008CA4: D9FE2100 E8000002
	v_mfma_i32_16x16x32_i8 v[84:87], a[166:167], v[214:215], v[84:87]// 000000008CAC: D3D70054 0D53ADA6
	v_mfma_i32_16x16x32_i8 v[84:87], a[168:169], v[216:217], v[84:87]// 000000008CB4: D3D70054 0D53B1A8
	buffer_load_dwordx4 a[44:47], v36, s[24:27], 0 offen offset:3072// 000000008CBC: E05C1C00 80862C24
	v_mfma_i32_16x16x32_i8 v[84:87], a[170:171], v[218:219], v[84:87]// 000000008CC4: D3D70054 0D53B5AA
	v_mfma_i32_16x16x32_i8 v[84:87], a[172:173], v[220:221], v[84:87]// 000000008CCC: D3D70054 0D53B9AC
	ds_read_b128 v[236:239], v2 offset:8512                    // 000000008CD4: D9FE2140 EC000002
	v_mfma_i32_16x16x32_i8 v[84:87], a[174:175], v[222:223], v[84:87]// 000000008CDC: D3D70054 0D53BDAE
	s_waitcnt vmcnt(28)                                        // 000000008CE4: BF8C4F7C
	v_mfma_i32_16x16x32_i8 v[88:91], a[176:177], v[192:193], v[88:91]// 000000008CE8: D3D70058 0D6381B0
	buffer_load_dwordx4 a[48:51], v37, s[24:27], 0 offen       // 000000008CF0: E05C1000 80863025
	v_mfma_i32_16x16x32_i8 v[88:91], a[178:179], v[194:195], v[88:91]// 000000008CF8: D3D70058 0D6385B2
	v_mfma_i32_16x16x32_i8 v[88:91], a[180:181], v[196:197], v[88:91]// 000000008D00: D3D70058 0D6389B4
	ds_read_b128 v[240:243], v2 offset:9344                    // 000000008D08: D9FE2480 F0000002
	v_mfma_i32_16x16x32_i8 v[88:91], a[182:183], v[198:199], v[88:91]// 000000008D10: D3D70058 0D638DB6
	v_mfma_i32_16x16x32_i8 v[88:91], a[184:185], v[200:201], v[88:91]// 000000008D18: D3D70058 0D6391B8
	buffer_load_dwordx4 a[52:55], v37, s[24:27], 0 offen offset:1024// 000000008D20: E05C1400 80863425
	v_mfma_i32_16x16x32_i8 v[88:91], a[186:187], v[202:203], v[88:91]// 000000008D28: D3D70058 0D6395BA
	v_mfma_i32_16x16x32_i8 v[88:91], a[188:189], v[204:205], v[88:91]// 000000008D30: D3D70058 0D6399BC
	ds_read_b128 v[244:247], v2 offset:9408                    // 000000008D38: D9FE24C0 F4000002
	v_mfma_i32_16x16x32_i8 v[88:91], a[190:191], v[206:207], v[88:91]// 000000008D40: D3D70058 0D639DBE
	v_mfma_i32_16x16x32_i8 v[92:95], a[176:177], v[208:209], v[92:95]// 000000008D48: D3D7005C 0D73A1B0
	buffer_load_dwordx4 a[56:59], v37, s[24:27], 0 offen offset:2048// 000000008D50: E05C1800 80863825
	v_mfma_i32_16x16x32_i8 v[92:95], a[178:179], v[210:211], v[92:95]// 000000008D58: D3D7005C 0D73A5B2
	v_mfma_i32_16x16x32_i8 v[92:95], a[180:181], v[212:213], v[92:95]// 000000008D60: D3D7005C 0D73A9B4
	ds_read_b128 v[248:251], v2 offset:9472                    // 000000008D68: D9FE2500 F8000002
	v_mfma_i32_16x16x32_i8 v[92:95], a[182:183], v[214:215], v[92:95]// 000000008D70: D3D7005C 0D73ADB6
	v_mfma_i32_16x16x32_i8 v[92:95], a[184:185], v[216:217], v[92:95]// 000000008D78: D3D7005C 0D73B1B8
	buffer_load_dwordx4 a[60:63], v37, s[24:27], 0 offen offset:3072// 000000008D80: E05C1C00 80863C25
	v_mfma_i32_16x16x32_i8 v[92:95], a[186:187], v[218:219], v[92:95]// 000000008D88: D3D7005C 0D73B5BA
	v_mfma_i32_16x16x32_i8 v[92:95], a[188:189], v[220:221], v[92:95]// 000000008D90: D3D7005C 0D73B9BC
	ds_read_b128 v[252:255], v2 offset:9536                    // 000000008D98: D9FE2540 FC000002
	v_mfma_i32_16x16x32_i8 v[92:95], a[190:191], v[222:223], v[92:95]// 000000008DA0: D3D7005C 0D73BDBE
	s_waitcnt vmcnt(28)                                        // 000000008DA8: BF8C4F7C
	v_mfma_i32_16x16x32_i8 v[96:99], a[192:193], v[192:193], v[96:99]// 000000008DAC: D3D70060 0D8381C0
	buffer_load_dwordx4 a[64:67], v38, s[24:27], 0 offen       // 000000008DB4: E05C1000 80864026
	v_mfma_i32_16x16x32_i8 v[96:99], a[194:195], v[194:195], v[96:99]// 000000008DBC: D3D70060 0D8385C2
	v_mfma_i32_16x16x32_i8 v[96:99], a[196:197], v[196:197], v[96:99]// 000000008DC4: D3D70060 0D8389C4
	v_mfma_i32_16x16x32_i8 v[96:99], a[198:199], v[198:199], v[96:99]// 000000008DCC: D3D70060 0D838DC6
	v_mfma_i32_16x16x32_i8 v[96:99], a[200:201], v[200:201], v[96:99]// 000000008DD4: D3D70060 0D8391C8
	buffer_load_dwordx4 a[68:71], v38, s[24:27], 0 offen offset:1024// 000000008DDC: E05C1400 80864426
	v_mfma_i32_16x16x32_i8 v[96:99], a[202:203], v[202:203], v[96:99]// 000000008DE4: D3D70060 0D8395CA
	v_mfma_i32_16x16x32_i8 v[96:99], a[204:205], v[204:205], v[96:99]// 000000008DEC: D3D70060 0D8399CC
	v_mfma_i32_16x16x32_i8 v[96:99], a[206:207], v[206:207], v[96:99]// 000000008DF4: D3D70060 0D839DCE
	v_mfma_i32_16x16x32_i8 v[100:103], a[192:193], v[208:209], v[100:103]// 000000008DFC: D3D70064 0D93A1C0
	buffer_load_dwordx4 a[72:75], v38, s[24:27], 0 offen offset:2048// 000000008E04: E05C1800 80864826
	v_mfma_i32_16x16x32_i8 v[100:103], a[194:195], v[210:211], v[100:103]// 000000008E0C: D3D70064 0D93A5C2
	v_mfma_i32_16x16x32_i8 v[100:103], a[196:197], v[212:213], v[100:103]// 000000008E14: D3D70064 0D93A9C4
	v_mfma_i32_16x16x32_i8 v[100:103], a[198:199], v[214:215], v[100:103]// 000000008E1C: D3D70064 0D93ADC6
	v_mfma_i32_16x16x32_i8 v[100:103], a[200:201], v[216:217], v[100:103]// 000000008E24: D3D70064 0D93B1C8
	buffer_load_dwordx4 a[76:79], v38, s[24:27], 0 offen offset:3072// 000000008E2C: E05C1C00 80864C26
	v_mfma_i32_16x16x32_i8 v[100:103], a[202:203], v[218:219], v[100:103]// 000000008E34: D3D70064 0D93B5CA
	v_mfma_i32_16x16x32_i8 v[100:103], a[204:205], v[220:221], v[100:103]// 000000008E3C: D3D70064 0D93B9CC
	v_mfma_i32_16x16x32_i8 v[100:103], a[206:207], v[222:223], v[100:103]// 000000008E44: D3D70064 0D93BDCE
	s_waitcnt vmcnt(28)                                        // 000000008E4C: BF8C4F7C
	v_mfma_i32_16x16x32_i8 v[104:107], a[208:209], v[192:193], v[104:107]// 000000008E50: D3D70068 0DA381D0
	buffer_load_dwordx4 a[80:83], v39, s[24:27], 0 offen       // 000000008E58: E05C1000 80865027
	v_mfma_i32_16x16x32_i8 v[104:107], a[210:211], v[194:195], v[104:107]// 000000008E60: D3D70068 0DA385D2
	v_mfma_i32_16x16x32_i8 v[104:107], a[212:213], v[196:197], v[104:107]// 000000008E68: D3D70068 0DA389D4
	v_mfma_i32_16x16x32_i8 v[104:107], a[214:215], v[198:199], v[104:107]// 000000008E70: D3D70068 0DA38DD6
	v_mfma_i32_16x16x32_i8 v[104:107], a[216:217], v[200:201], v[104:107]// 000000008E78: D3D70068 0DA391D8
	buffer_load_dwordx4 a[84:87], v39, s[24:27], 0 offen offset:1024// 000000008E80: E05C1400 80865427
	v_mfma_i32_16x16x32_i8 v[104:107], a[218:219], v[202:203], v[104:107]// 000000008E88: D3D70068 0DA395DA
	v_mfma_i32_16x16x32_i8 v[104:107], a[220:221], v[204:205], v[104:107]// 000000008E90: D3D70068 0DA399DC
	v_mfma_i32_16x16x32_i8 v[104:107], a[222:223], v[206:207], v[104:107]// 000000008E98: D3D70068 0DA39DDE
	v_mfma_i32_16x16x32_i8 v[108:111], a[208:209], v[208:209], v[108:111]// 000000008EA0: D3D7006C 0DB3A1D0
	buffer_load_dwordx4 a[88:91], v39, s[24:27], 0 offen offset:2048// 000000008EA8: E05C1800 80865827
	v_mfma_i32_16x16x32_i8 v[108:111], a[210:211], v[210:211], v[108:111]// 000000008EB0: D3D7006C 0DB3A5D2
	v_mfma_i32_16x16x32_i8 v[108:111], a[212:213], v[212:213], v[108:111]// 000000008EB8: D3D7006C 0DB3A9D4
	v_mfma_i32_16x16x32_i8 v[108:111], a[214:215], v[214:215], v[108:111]// 000000008EC0: D3D7006C 0DB3ADD6
	v_mfma_i32_16x16x32_i8 v[108:111], a[216:217], v[216:217], v[108:111]// 000000008EC8: D3D7006C 0DB3B1D8
	buffer_load_dwordx4 a[92:95], v39, s[24:27], 0 offen offset:3072// 000000008ED0: E05C1C00 80865C27
	v_mfma_i32_16x16x32_i8 v[108:111], a[218:219], v[218:219], v[108:111]// 000000008ED8: D3D7006C 0DB3B5DA
	v_mfma_i32_16x16x32_i8 v[108:111], a[220:221], v[220:221], v[108:111]// 000000008EE0: D3D7006C 0DB3B9DC
	v_mfma_i32_16x16x32_i8 v[108:111], a[222:223], v[222:223], v[108:111]// 000000008EE8: D3D7006C 0DB3BDDE
	s_waitcnt vmcnt(28)                                        // 000000008EF0: BF8C4F7C
	v_mfma_i32_16x16x32_i8 v[112:115], a[224:225], v[192:193], v[112:115]// 000000008EF4: D3D70070 0DC381E0
	buffer_load_dwordx4 a[96:99], v40, s[24:27], 0 offen       // 000000008EFC: E05C1000 80866028
	v_mfma_i32_16x16x32_i8 v[112:115], a[226:227], v[194:195], v[112:115]// 000000008F04: D3D70070 0DC385E2
	v_mfma_i32_16x16x32_i8 v[112:115], a[228:229], v[196:197], v[112:115]// 000000008F0C: D3D70070 0DC389E4
	v_mfma_i32_16x16x32_i8 v[112:115], a[230:231], v[198:199], v[112:115]// 000000008F14: D3D70070 0DC38DE6
	v_mfma_i32_16x16x32_i8 v[112:115], a[232:233], v[200:201], v[112:115]// 000000008F1C: D3D70070 0DC391E8
	buffer_load_dwordx4 a[100:103], v40, s[24:27], 0 offen offset:1024// 000000008F24: E05C1400 80866428
	v_mfma_i32_16x16x32_i8 v[112:115], a[234:235], v[202:203], v[112:115]// 000000008F2C: D3D70070 0DC395EA
	v_mfma_i32_16x16x32_i8 v[112:115], a[236:237], v[204:205], v[112:115]// 000000008F34: D3D70070 0DC399EC
	v_mfma_i32_16x16x32_i8 v[112:115], a[238:239], v[206:207], v[112:115]// 000000008F3C: D3D70070 0DC39DEE
	v_mfma_i32_16x16x32_i8 v[116:119], a[224:225], v[208:209], v[116:119]// 000000008F44: D3D70074 0DD3A1E0
	buffer_load_dwordx4 a[104:107], v40, s[24:27], 0 offen offset:2048// 000000008F4C: E05C1800 80866828
	v_mfma_i32_16x16x32_i8 v[116:119], a[226:227], v[210:211], v[116:119]// 000000008F54: D3D70074 0DD3A5E2
	v_mfma_i32_16x16x32_i8 v[116:119], a[228:229], v[212:213], v[116:119]// 000000008F5C: D3D70074 0DD3A9E4
	v_mfma_i32_16x16x32_i8 v[116:119], a[230:231], v[214:215], v[116:119]// 000000008F64: D3D70074 0DD3ADE6
	v_mfma_i32_16x16x32_i8 v[116:119], a[232:233], v[216:217], v[116:119]// 000000008F6C: D3D70074 0DD3B1E8
	buffer_load_dwordx4 a[108:111], v40, s[24:27], 0 offen offset:3072// 000000008F74: E05C1C00 80866C28
	v_mfma_i32_16x16x32_i8 v[116:119], a[234:235], v[218:219], v[116:119]// 000000008F7C: D3D70074 0DD3B5EA
	v_mfma_i32_16x16x32_i8 v[116:119], a[236:237], v[220:221], v[116:119]// 000000008F84: D3D70074 0DD3B9EC
	v_mfma_i32_16x16x32_i8 v[116:119], a[238:239], v[222:223], v[116:119]// 000000008F8C: D3D70074 0DD3BDEE
	s_waitcnt vmcnt(28)                                        // 000000008F94: BF8C4F7C
	v_mfma_i32_16x16x32_i8 v[120:123], a[240:241], v[192:193], v[120:123]// 000000008F98: D3D70078 0DE381F0
	buffer_load_dwordx4 a[112:115], v41, s[24:27], 0 offen     // 000000008FA0: E05C1000 80867029
	v_mfma_i32_16x16x32_i8 v[120:123], a[242:243], v[194:195], v[120:123]// 000000008FA8: D3D70078 0DE385F2
	v_mfma_i32_16x16x32_i8 v[120:123], a[244:245], v[196:197], v[120:123]// 000000008FB0: D3D70078 0DE389F4
	v_mfma_i32_16x16x32_i8 v[120:123], a[246:247], v[198:199], v[120:123]// 000000008FB8: D3D70078 0DE38DF6
	v_mfma_i32_16x16x32_i8 v[120:123], a[248:249], v[200:201], v[120:123]// 000000008FC0: D3D70078 0DE391F8
	buffer_load_dwordx4 a[116:119], v41, s[24:27], 0 offen offset:1024// 000000008FC8: E05C1400 80867429
	v_mfma_i32_16x16x32_i8 v[120:123], a[250:251], v[202:203], v[120:123]// 000000008FD0: D3D70078 0DE395FA
	v_mfma_i32_16x16x32_i8 v[120:123], a[252:253], v[204:205], v[120:123]// 000000008FD8: D3D70078 0DE399FC
	v_mfma_i32_16x16x32_i8 v[120:123], a[254:255], v[206:207], v[120:123]// 000000008FE0: D3D70078 0DE39DFE
	v_mfma_i32_16x16x32_i8 v[124:127], a[240:241], v[208:209], v[124:127]// 000000008FE8: D3D7007C 0DF3A1F0
	buffer_load_dwordx4 a[120:123], v41, s[24:27], 0 offen offset:2048// 000000008FF0: E05C1800 80867829
	v_mfma_i32_16x16x32_i8 v[124:127], a[242:243], v[210:211], v[124:127]// 000000008FF8: D3D7007C 0DF3A5F2
	v_mfma_i32_16x16x32_i8 v[124:127], a[244:245], v[212:213], v[124:127]// 000000009000: D3D7007C 0DF3A9F4
	v_mfma_i32_16x16x32_i8 v[124:127], a[246:247], v[214:215], v[124:127]// 000000009008: D3D7007C 0DF3ADF6
	v_mfma_i32_16x16x32_i8 v[124:127], a[248:249], v[216:217], v[124:127]// 000000009010: D3D7007C 0DF3B1F8
	buffer_load_dwordx4 a[124:127], v41, s[24:27], 0 offen offset:3072// 000000009018: E05C1C00 80867C29
	v_mfma_i32_16x16x32_i8 v[124:127], a[250:251], v[218:219], v[124:127]// 000000009020: D3D7007C 0DF3B5FA
	v_mfma_i32_16x16x32_i8 v[124:127], a[252:253], v[220:221], v[124:127]// 000000009028: D3D7007C 0DF3B9FC
	v_mfma_i32_16x16x32_i8 v[124:127], a[254:255], v[222:223], v[124:127]// 000000009030: D3D7007C 0DF3BDFE
	s_add_u32 s60, 0x200, s80                                  // 000000009038: 803C50FF 00000200
	s_cmp_lt_u32 s60, s81                                      // 000000009040: BF0A513C
	s_cselect_b32 s57, s57, 0                                  // 000000009044: 85398039
	s_add_u32 s60, 0x200, s80                                  // 000000009048: 803C50FF 00000200
	s_cmp_lt_u32 s60, s81                                      // 000000009050: BF0A513C
	s_cselect_b32 s58, s58, 0                                  // 000000009054: 853A803A
	s_add_u32 s20, s57, s20                                    // 000000009058: 80141439
	s_addc_u32 s21, 0, s21                                     // 00000000905C: 82151580
	s_add_u32 s24, s58, s24                                    // 000000009060: 8018183A
	s_addc_u32 s25, 0, s25                                     // 000000009064: 82191980
	s_add_u32 s92, s90, s92                                    // 000000009068: 805C5C5A
	s_addc_u32 s93, 0, s93                                     // 00000000906C: 825D5D80
	s_addk_i32 s80, 0x100                                      // 000000009070: B7500100
	s_cmp_lt_i32 s80, s81                                      // 000000009074: BF045150
	s_cbranch_scc0 label_1B70                                  // 000000009078: BF8402D1
	s_waitcnt vmcnt(24) lgkmcnt(0)                             // 00000000907C: BF8C4078
	s_barrier                                                  // 000000009080: BF8A0000
	v_mfma_i32_16x16x32_i8 v[128:131], a[0:1], v[224:225], v[128:131]// 000000009084: D3D70080 0E03C100
	buffer_load_dwordx4 a[128:131], v34, s[92:95], 0 offen     // 00000000908C: E05C1000 80978022
	v_mfma_i32_16x16x32_i8 v[128:131], a[2:3], v[226:227], v[128:131]// 000000009094: D3D70080 0E03C502
	v_mfma_i32_16x16x32_i8 v[128:131], a[4:5], v[228:229], v[128:131]// 00000000909C: D3D70080 0E03C904
	buffer_load_dword v26, s[20:23], 0 offen lds               // 0000000090A4: E0511000 8005001A
	s_add_u32 m0, 0x100, s50                                   // 0000000090AC: 807C32FF 00000100
	v_mfma_i32_16x16x32_i8 v[128:131], a[6:7], v[230:231], v[128:131]// 0000000090B4: D3D70080 0E03CD06
	v_mfma_i32_16x16x32_i8 v[128:131], a[8:9], v[232:233], v[128:131]// 0000000090BC: D3D70080 0E03D108
	buffer_load_dwordx4 a[132:135], v34, s[92:95], 0 offen offset:1024// 0000000090C4: E05C1400 80978422
	v_mfma_i32_16x16x32_i8 v[128:131], a[10:11], v[234:235], v[128:131]// 0000000090CC: D3D70080 0E03D50A
	v_mfma_i32_16x16x32_i8 v[128:131], a[12:13], v[236:237], v[128:131]// 0000000090D4: D3D70080 0E03D90C
	buffer_load_dword v27, s[20:23], 0 offen lds               // 0000000090DC: E0511000 8005001B
	s_add_u32 m0, 0x200, s50                                   // 0000000090E4: 807C32FF 00000200
	v_mfma_i32_16x16x32_i8 v[128:131], a[14:15], v[238:239], v[128:131]// 0000000090EC: D3D70080 0E03DD0E
	v_mfma_i32_16x16x32_i8 v[132:135], a[0:1], v[240:241], v[132:135]// 0000000090F4: D3D70084 0E13E100
	buffer_load_dwordx4 a[136:139], v34, s[92:95], 0 offen offset:2048// 0000000090FC: E05C1800 80978822
	v_mfma_i32_16x16x32_i8 v[132:135], a[2:3], v[242:243], v[132:135]// 000000009104: D3D70084 0E13E502
	v_mfma_i32_16x16x32_i8 v[132:135], a[4:5], v[244:245], v[132:135]// 00000000910C: D3D70084 0E13E904
	buffer_load_dword v28, s[20:23], 0 offen lds               // 000000009114: E0511000 8005001C
	s_add_u32 m0, 0x300, s50                                   // 00000000911C: 807C32FF 00000300
	v_mfma_i32_16x16x32_i8 v[132:135], a[6:7], v[246:247], v[132:135]// 000000009124: D3D70084 0E13ED06
	v_mfma_i32_16x16x32_i8 v[132:135], a[8:9], v[248:249], v[132:135]// 00000000912C: D3D70084 0E13F108
	buffer_load_dwordx4 a[140:143], v34, s[92:95], 0 offen offset:3072// 000000009134: E05C1C00 80978C22
	v_mfma_i32_16x16x32_i8 v[132:135], a[10:11], v[250:251], v[132:135]// 00000000913C: D3D70084 0E13F50A
	v_mfma_i32_16x16x32_i8 v[132:135], a[12:13], v[252:253], v[132:135]// 000000009144: D3D70084 0E13F90C
	buffer_load_dword v29, s[20:23], 0 offen lds               // 00000000914C: E0511000 8005001D
	s_add_u32 m0, 0x400, s50                                   // 000000009154: 807C32FF 00000400
	v_mfma_i32_16x16x32_i8 v[132:135], a[14:15], v[254:255], v[132:135]// 00000000915C: D3D70084 0E13FD0E
	v_mfma_i32_16x16x32_i8 v[136:139], a[16:17], v[224:225], v[136:139]// 000000009164: D3D70088 0E23C110
	buffer_load_dwordx4 a[144:147], v35, s[92:95], 0 offen     // 00000000916C: E05C1000 80979023
	v_mfma_i32_16x16x32_i8 v[136:139], a[18:19], v[226:227], v[136:139]// 000000009174: D3D70088 0E23C512
	v_mfma_i32_16x16x32_i8 v[136:139], a[20:21], v[228:229], v[136:139]// 00000000917C: D3D70088 0E23C914
	buffer_load_dword v30, s[20:23], 0 offen lds               // 000000009184: E0511000 8005001E
	s_add_u32 m0, 0x500, s50                                   // 00000000918C: 807C32FF 00000500
	v_mfma_i32_16x16x32_i8 v[136:139], a[22:23], v[230:231], v[136:139]// 000000009194: D3D70088 0E23CD16
	v_mfma_i32_16x16x32_i8 v[136:139], a[24:25], v[232:233], v[136:139]// 00000000919C: D3D70088 0E23D118
	buffer_load_dwordx4 a[148:151], v35, s[92:95], 0 offen offset:1024// 0000000091A4: E05C1400 80979423
	v_mfma_i32_16x16x32_i8 v[136:139], a[26:27], v[234:235], v[136:139]// 0000000091AC: D3D70088 0E23D51A
	v_mfma_i32_16x16x32_i8 v[136:139], a[28:29], v[236:237], v[136:139]// 0000000091B4: D3D70088 0E23D91C
	buffer_load_dword v31, s[20:23], 0 offen lds               // 0000000091BC: E0511000 8005001F
	s_add_u32 m0, 0x600, s50                                   // 0000000091C4: 807C32FF 00000600
	v_mfma_i32_16x16x32_i8 v[136:139], a[30:31], v[238:239], v[136:139]// 0000000091CC: D3D70088 0E23DD1E
	v_mfma_i32_16x16x32_i8 v[140:143], a[16:17], v[240:241], v[140:143]// 0000000091D4: D3D7008C 0E33E110
	buffer_load_dwordx4 a[152:155], v35, s[92:95], 0 offen offset:2048// 0000000091DC: E05C1800 80979823
	v_mfma_i32_16x16x32_i8 v[140:143], a[18:19], v[242:243], v[140:143]// 0000000091E4: D3D7008C 0E33E512
	v_mfma_i32_16x16x32_i8 v[140:143], a[20:21], v[244:245], v[140:143]// 0000000091EC: D3D7008C 0E33E914
	buffer_load_dword v32, s[20:23], 0 offen lds               // 0000000091F4: E0511000 80050020
	s_add_u32 m0, 0x700, s50                                   // 0000000091FC: 807C32FF 00000700
	v_mfma_i32_16x16x32_i8 v[140:143], a[22:23], v[246:247], v[140:143]// 000000009204: D3D7008C 0E33ED16
	v_mfma_i32_16x16x32_i8 v[140:143], a[24:25], v[248:249], v[140:143]// 00000000920C: D3D7008C 0E33F118
	buffer_load_dwordx4 a[156:159], v35, s[92:95], 0 offen offset:3072// 000000009214: E05C1C00 80979C23
	v_mfma_i32_16x16x32_i8 v[140:143], a[26:27], v[250:251], v[140:143]// 00000000921C: D3D7008C 0E33F51A
	v_mfma_i32_16x16x32_i8 v[140:143], a[28:29], v[252:253], v[140:143]// 000000009224: D3D7008C 0E33F91C
	buffer_load_dword v33, s[20:23], 0 offen lds               // 00000000922C: E0511000 80050021
	s_add_u32 m0, 0, s51                                       // 000000009234: 807C3380
	v_mfma_i32_16x16x32_i8 v[140:143], a[30:31], v[254:255], v[140:143]// 000000009238: D3D7008C 0E33FD1E
	s_waitcnt vmcnt(36)                                        // 000000009240: BF8C8F74
	v_mfma_i32_16x16x32_i8 v[144:147], a[32:33], v[224:225], v[144:147]// 000000009244: D3D70090 0E43C120
	buffer_load_dwordx4 a[160:163], v36, s[92:95], 0 offen     // 00000000924C: E05C1000 8097A024
	v_mfma_i32_16x16x32_i8 v[144:147], a[34:35], v[226:227], v[144:147]// 000000009254: D3D70090 0E43C522
	v_mfma_i32_16x16x32_i8 v[144:147], a[36:37], v[228:229], v[144:147]// 00000000925C: D3D70090 0E43C924
	v_mfma_i32_16x16x32_i8 v[144:147], a[38:39], v[230:231], v[144:147]// 000000009264: D3D70090 0E43CD26
	v_mfma_i32_16x16x32_i8 v[144:147], a[40:41], v[232:233], v[144:147]// 00000000926C: D3D70090 0E43D128
	buffer_load_dwordx4 a[164:167], v36, s[92:95], 0 offen offset:1024// 000000009274: E05C1400 8097A424
	v_mfma_i32_16x16x32_i8 v[144:147], a[42:43], v[234:235], v[144:147]// 00000000927C: D3D70090 0E43D52A
	v_mfma_i32_16x16x32_i8 v[144:147], a[44:45], v[236:237], v[144:147]// 000000009284: D3D70090 0E43D92C
	v_mfma_i32_16x16x32_i8 v[144:147], a[46:47], v[238:239], v[144:147]// 00000000928C: D3D70090 0E43DD2E
	v_mfma_i32_16x16x32_i8 v[148:151], a[32:33], v[240:241], v[148:151]// 000000009294: D3D70094 0E53E120
	buffer_load_dwordx4 a[168:171], v36, s[92:95], 0 offen offset:2048// 00000000929C: E05C1800 8097A824
	v_mfma_i32_16x16x32_i8 v[148:151], a[34:35], v[242:243], v[148:151]// 0000000092A4: D3D70094 0E53E522
	v_mfma_i32_16x16x32_i8 v[148:151], a[36:37], v[244:245], v[148:151]// 0000000092AC: D3D70094 0E53E924
	v_mfma_i32_16x16x32_i8 v[148:151], a[38:39], v[246:247], v[148:151]// 0000000092B4: D3D70094 0E53ED26
	v_mfma_i32_16x16x32_i8 v[148:151], a[40:41], v[248:249], v[148:151]// 0000000092BC: D3D70094 0E53F128
	buffer_load_dwordx4 a[172:175], v36, s[92:95], 0 offen offset:3072// 0000000092C4: E05C1C00 8097AC24
	v_mfma_i32_16x16x32_i8 v[148:151], a[42:43], v[250:251], v[148:151]// 0000000092CC: D3D70094 0E53F52A
	v_mfma_i32_16x16x32_i8 v[148:151], a[44:45], v[252:253], v[148:151]// 0000000092D4: D3D70094 0E53F92C
	v_mfma_i32_16x16x32_i8 v[148:151], a[46:47], v[254:255], v[148:151]// 0000000092DC: D3D70094 0E53FD2E
	s_waitcnt vmcnt(36)                                        // 0000000092E4: BF8C8F74
	v_mfma_i32_16x16x32_i8 v[152:155], a[48:49], v[224:225], v[152:155]// 0000000092E8: D3D70098 0E63C130
	buffer_load_dwordx4 a[176:179], v37, s[92:95], 0 offen     // 0000000092F0: E05C1000 8097B025
	v_mfma_i32_16x16x32_i8 v[152:155], a[50:51], v[226:227], v[152:155]// 0000000092F8: D3D70098 0E63C532
	v_mfma_i32_16x16x32_i8 v[152:155], a[52:53], v[228:229], v[152:155]// 000000009300: D3D70098 0E63C934
	v_mfma_i32_16x16x32_i8 v[152:155], a[54:55], v[230:231], v[152:155]// 000000009308: D3D70098 0E63CD36
	v_mfma_i32_16x16x32_i8 v[152:155], a[56:57], v[232:233], v[152:155]// 000000009310: D3D70098 0E63D138
	buffer_load_dwordx4 a[180:183], v37, s[92:95], 0 offen offset:1024// 000000009318: E05C1400 8097B425
	v_mfma_i32_16x16x32_i8 v[152:155], a[58:59], v[234:235], v[152:155]// 000000009320: D3D70098 0E63D53A
	v_mfma_i32_16x16x32_i8 v[152:155], a[60:61], v[236:237], v[152:155]// 000000009328: D3D70098 0E63D93C
	v_mfma_i32_16x16x32_i8 v[152:155], a[62:63], v[238:239], v[152:155]// 000000009330: D3D70098 0E63DD3E
	v_mfma_i32_16x16x32_i8 v[156:159], a[48:49], v[240:241], v[156:159]// 000000009338: D3D7009C 0E73E130
	buffer_load_dwordx4 a[184:187], v37, s[92:95], 0 offen offset:2048// 000000009340: E05C1800 8097B825
	v_mfma_i32_16x16x32_i8 v[156:159], a[50:51], v[242:243], v[156:159]// 000000009348: D3D7009C 0E73E532
	v_mfma_i32_16x16x32_i8 v[156:159], a[52:53], v[244:245], v[156:159]// 000000009350: D3D7009C 0E73E934
	v_mfma_i32_16x16x32_i8 v[156:159], a[54:55], v[246:247], v[156:159]// 000000009358: D3D7009C 0E73ED36
	v_mfma_i32_16x16x32_i8 v[156:159], a[56:57], v[248:249], v[156:159]// 000000009360: D3D7009C 0E73F138
	buffer_load_dwordx4 a[188:191], v37, s[92:95], 0 offen offset:3072// 000000009368: E05C1C00 8097BC25
	v_mfma_i32_16x16x32_i8 v[156:159], a[58:59], v[250:251], v[156:159]// 000000009370: D3D7009C 0E73F53A
	v_mfma_i32_16x16x32_i8 v[156:159], a[60:61], v[252:253], v[156:159]// 000000009378: D3D7009C 0E73F93C
	v_mfma_i32_16x16x32_i8 v[156:159], a[62:63], v[254:255], v[156:159]// 000000009380: D3D7009C 0E73FD3E
	s_waitcnt vmcnt(36)                                        // 000000009388: BF8C8F74
	v_mfma_i32_16x16x32_i8 v[160:163], a[64:65], v[224:225], v[160:163]// 00000000938C: D3D700A0 0E83C140
	buffer_load_dwordx4 a[192:195], v38, s[92:95], 0 offen     // 000000009394: E05C1000 8097C026
	v_mfma_i32_16x16x32_i8 v[160:163], a[66:67], v[226:227], v[160:163]// 00000000939C: D3D700A0 0E83C542
	v_mfma_i32_16x16x32_i8 v[160:163], a[68:69], v[228:229], v[160:163]// 0000000093A4: D3D700A0 0E83C944
	v_mfma_i32_16x16x32_i8 v[160:163], a[70:71], v[230:231], v[160:163]// 0000000093AC: D3D700A0 0E83CD46
	v_mfma_i32_16x16x32_i8 v[160:163], a[72:73], v[232:233], v[160:163]// 0000000093B4: D3D700A0 0E83D148
	buffer_load_dwordx4 a[196:199], v38, s[92:95], 0 offen offset:1024// 0000000093BC: E05C1400 8097C426
	v_mfma_i32_16x16x32_i8 v[160:163], a[74:75], v[234:235], v[160:163]// 0000000093C4: D3D700A0 0E83D54A
	v_mfma_i32_16x16x32_i8 v[160:163], a[76:77], v[236:237], v[160:163]// 0000000093CC: D3D700A0 0E83D94C
	v_mfma_i32_16x16x32_i8 v[160:163], a[78:79], v[238:239], v[160:163]// 0000000093D4: D3D700A0 0E83DD4E
	v_mfma_i32_16x16x32_i8 v[164:167], a[64:65], v[240:241], v[164:167]// 0000000093DC: D3D700A4 0E93E140
	buffer_load_dwordx4 a[200:203], v38, s[92:95], 0 offen offset:2048// 0000000093E4: E05C1800 8097C826
	v_mfma_i32_16x16x32_i8 v[164:167], a[66:67], v[242:243], v[164:167]// 0000000093EC: D3D700A4 0E93E542
	v_mfma_i32_16x16x32_i8 v[164:167], a[68:69], v[244:245], v[164:167]// 0000000093F4: D3D700A4 0E93E944
	v_mfma_i32_16x16x32_i8 v[164:167], a[70:71], v[246:247], v[164:167]// 0000000093FC: D3D700A4 0E93ED46
	v_mfma_i32_16x16x32_i8 v[164:167], a[72:73], v[248:249], v[164:167]// 000000009404: D3D700A4 0E93F148
	buffer_load_dwordx4 a[204:207], v38, s[92:95], 0 offen offset:3072// 00000000940C: E05C1C00 8097CC26
	v_mfma_i32_16x16x32_i8 v[164:167], a[74:75], v[250:251], v[164:167]// 000000009414: D3D700A4 0E93F54A
	v_mfma_i32_16x16x32_i8 v[164:167], a[76:77], v[252:253], v[164:167]// 00000000941C: D3D700A4 0E93F94C
	v_mfma_i32_16x16x32_i8 v[164:167], a[78:79], v[254:255], v[164:167]// 000000009424: D3D700A4 0E93FD4E
	s_waitcnt vmcnt(36)                                        // 00000000942C: BF8C8F74
	v_mfma_i32_16x16x32_i8 v[168:171], a[80:81], v[224:225], v[168:171]// 000000009430: D3D700A8 0EA3C150
	buffer_load_dwordx4 a[208:211], v39, s[92:95], 0 offen     // 000000009438: E05C1000 8097D027
	v_mfma_i32_16x16x32_i8 v[168:171], a[82:83], v[226:227], v[168:171]// 000000009440: D3D700A8 0EA3C552
	v_mfma_i32_16x16x32_i8 v[168:171], a[84:85], v[228:229], v[168:171]// 000000009448: D3D700A8 0EA3C954
	v_mfma_i32_16x16x32_i8 v[168:171], a[86:87], v[230:231], v[168:171]// 000000009450: D3D700A8 0EA3CD56
	v_mfma_i32_16x16x32_i8 v[168:171], a[88:89], v[232:233], v[168:171]// 000000009458: D3D700A8 0EA3D158
	buffer_load_dwordx4 a[212:215], v39, s[92:95], 0 offen offset:1024// 000000009460: E05C1400 8097D427
	v_mfma_i32_16x16x32_i8 v[168:171], a[90:91], v[234:235], v[168:171]// 000000009468: D3D700A8 0EA3D55A
	v_mfma_i32_16x16x32_i8 v[168:171], a[92:93], v[236:237], v[168:171]// 000000009470: D3D700A8 0EA3D95C
	v_mfma_i32_16x16x32_i8 v[168:171], a[94:95], v[238:239], v[168:171]// 000000009478: D3D700A8 0EA3DD5E
	v_mfma_i32_16x16x32_i8 v[172:175], a[80:81], v[240:241], v[172:175]// 000000009480: D3D700AC 0EB3E150
	buffer_load_dwordx4 a[216:219], v39, s[92:95], 0 offen offset:2048// 000000009488: E05C1800 8097D827
	v_mfma_i32_16x16x32_i8 v[172:175], a[82:83], v[242:243], v[172:175]// 000000009490: D3D700AC 0EB3E552
	v_mfma_i32_16x16x32_i8 v[172:175], a[84:85], v[244:245], v[172:175]// 000000009498: D3D700AC 0EB3E954
	v_mfma_i32_16x16x32_i8 v[172:175], a[86:87], v[246:247], v[172:175]// 0000000094A0: D3D700AC 0EB3ED56
	v_mfma_i32_16x16x32_i8 v[172:175], a[88:89], v[248:249], v[172:175]// 0000000094A8: D3D700AC 0EB3F158
	buffer_load_dwordx4 a[220:223], v39, s[92:95], 0 offen offset:3072// 0000000094B0: E05C1C00 8097DC27
	v_mfma_i32_16x16x32_i8 v[172:175], a[90:91], v[250:251], v[172:175]// 0000000094B8: D3D700AC 0EB3F55A
	v_mfma_i32_16x16x32_i8 v[172:175], a[92:93], v[252:253], v[172:175]// 0000000094C0: D3D700AC 0EB3F95C
	v_mfma_i32_16x16x32_i8 v[172:175], a[94:95], v[254:255], v[172:175]// 0000000094C8: D3D700AC 0EB3FD5E
	s_waitcnt vmcnt(36)                                        // 0000000094D0: BF8C8F74
	v_mfma_i32_16x16x32_i8 v[176:179], a[96:97], v[224:225], v[176:179]// 0000000094D4: D3D700B0 0EC3C160
	buffer_load_dwordx4 a[224:227], v40, s[92:95], 0 offen     // 0000000094DC: E05C1000 8097E028
	v_mfma_i32_16x16x32_i8 v[176:179], a[98:99], v[226:227], v[176:179]// 0000000094E4: D3D700B0 0EC3C562
	v_mfma_i32_16x16x32_i8 v[176:179], a[100:101], v[228:229], v[176:179]// 0000000094EC: D3D700B0 0EC3C964
	v_mfma_i32_16x16x32_i8 v[176:179], a[102:103], v[230:231], v[176:179]// 0000000094F4: D3D700B0 0EC3CD66
	v_mfma_i32_16x16x32_i8 v[176:179], a[104:105], v[232:233], v[176:179]// 0000000094FC: D3D700B0 0EC3D168
	buffer_load_dwordx4 a[228:231], v40, s[92:95], 0 offen offset:1024// 000000009504: E05C1400 8097E428
	v_mfma_i32_16x16x32_i8 v[176:179], a[106:107], v[234:235], v[176:179]// 00000000950C: D3D700B0 0EC3D56A
	v_mfma_i32_16x16x32_i8 v[176:179], a[108:109], v[236:237], v[176:179]// 000000009514: D3D700B0 0EC3D96C
	v_mfma_i32_16x16x32_i8 v[176:179], a[110:111], v[238:239], v[176:179]// 00000000951C: D3D700B0 0EC3DD6E
	v_mfma_i32_16x16x32_i8 v[180:183], a[96:97], v[240:241], v[180:183]// 000000009524: D3D700B4 0ED3E160
	buffer_load_dwordx4 a[232:235], v40, s[92:95], 0 offen offset:2048// 00000000952C: E05C1800 8097E828
	v_mfma_i32_16x16x32_i8 v[180:183], a[98:99], v[242:243], v[180:183]// 000000009534: D3D700B4 0ED3E562
	v_mfma_i32_16x16x32_i8 v[180:183], a[100:101], v[244:245], v[180:183]// 00000000953C: D3D700B4 0ED3E964
	v_mfma_i32_16x16x32_i8 v[180:183], a[102:103], v[246:247], v[180:183]// 000000009544: D3D700B4 0ED3ED66
	v_mfma_i32_16x16x32_i8 v[180:183], a[104:105], v[248:249], v[180:183]// 00000000954C: D3D700B4 0ED3F168
	buffer_load_dwordx4 a[236:239], v40, s[92:95], 0 offen offset:3072// 000000009554: E05C1C00 8097EC28
	v_mfma_i32_16x16x32_i8 v[180:183], a[106:107], v[250:251], v[180:183]// 00000000955C: D3D700B4 0ED3F56A
	v_mfma_i32_16x16x32_i8 v[180:183], a[108:109], v[252:253], v[180:183]// 000000009564: D3D700B4 0ED3F96C
	v_mfma_i32_16x16x32_i8 v[180:183], a[110:111], v[254:255], v[180:183]// 00000000956C: D3D700B4 0ED3FD6E
	s_waitcnt vmcnt(36)                                        // 000000009574: BF8C8F74
	v_mfma_i32_16x16x32_i8 v[184:187], a[112:113], v[224:225], v[184:187]// 000000009578: D3D700B8 0EE3C170
	buffer_load_dwordx4 a[240:243], v41, s[92:95], 0 offen     // 000000009580: E05C1000 8097F029
	v_mfma_i32_16x16x32_i8 v[184:187], a[114:115], v[226:227], v[184:187]// 000000009588: D3D700B8 0EE3C572
	v_mfma_i32_16x16x32_i8 v[184:187], a[116:117], v[228:229], v[184:187]// 000000009590: D3D700B8 0EE3C974
	v_mfma_i32_16x16x32_i8 v[184:187], a[118:119], v[230:231], v[184:187]// 000000009598: D3D700B8 0EE3CD76
	v_mfma_i32_16x16x32_i8 v[184:187], a[120:121], v[232:233], v[184:187]// 0000000095A0: D3D700B8 0EE3D178
	buffer_load_dwordx4 a[244:247], v41, s[92:95], 0 offen offset:1024// 0000000095A8: E05C1400 8097F429
	v_mfma_i32_16x16x32_i8 v[184:187], a[122:123], v[234:235], v[184:187]// 0000000095B0: D3D700B8 0EE3D57A
	v_mfma_i32_16x16x32_i8 v[184:187], a[124:125], v[236:237], v[184:187]// 0000000095B8: D3D700B8 0EE3D97C
	v_mfma_i32_16x16x32_i8 v[184:187], a[126:127], v[238:239], v[184:187]// 0000000095C0: D3D700B8 0EE3DD7E
	v_mfma_i32_16x16x32_i8 v[188:191], a[112:113], v[240:241], v[188:191]// 0000000095C8: D3D700BC 0EF3E170
	buffer_load_dwordx4 a[248:251], v41, s[92:95], 0 offen offset:2048// 0000000095D0: E05C1800 8097F829
	v_mfma_i32_16x16x32_i8 v[188:191], a[114:115], v[242:243], v[188:191]// 0000000095D8: D3D700BC 0EF3E572
	v_mfma_i32_16x16x32_i8 v[188:191], a[116:117], v[244:245], v[188:191]// 0000000095E0: D3D700BC 0EF3E974
	v_mfma_i32_16x16x32_i8 v[188:191], a[118:119], v[246:247], v[188:191]// 0000000095E8: D3D700BC 0EF3ED76
	v_mfma_i32_16x16x32_i8 v[188:191], a[120:121], v[248:249], v[188:191]// 0000000095F0: D3D700BC 0EF3F178
	buffer_load_dwordx4 a[252:255], v41, s[92:95], 0 offen offset:3072// 0000000095F8: E05C1C00 8097FC29
	v_mfma_i32_16x16x32_i8 v[188:191], a[122:123], v[250:251], v[188:191]// 000000009600: D3D700BC 0EF3F57A
	v_mfma_i32_16x16x32_i8 v[188:191], a[124:125], v[252:253], v[188:191]// 000000009608: D3D700BC 0EF3F97C
	v_mfma_i32_16x16x32_i8 v[188:191], a[126:127], v[254:255], v[188:191]// 000000009610: D3D700BC 0EF3FD7E
	s_waitcnt vmcnt(24)                                        // 000000009618: BF8C4F78
	s_barrier                                                  // 00000000961C: BF8A0000
	v_mfma_i32_16x16x32_i8 v[64:67], a[128:129], v[224:225], v[64:67]// 000000009620: D3D70040 0D03C180
	buffer_load_dwordx4 a[0:3], v34, s[24:27], 0 offen         // 000000009628: E05C1000 80860022
	v_mfma_i32_16x16x32_i8 v[64:67], a[130:131], v[226:227], v[64:67]// 000000009630: D3D70040 0D03C582
	v_mfma_i32_16x16x32_i8 v[64:67], a[132:133], v[228:229], v[64:67]// 000000009638: D3D70040 0D03C984
	v_mfma_i32_16x16x32_i8 v[64:67], a[134:135], v[230:231], v[64:67]// 000000009640: D3D70040 0D03CD86
	v_mfma_i32_16x16x32_i8 v[64:67], a[136:137], v[232:233], v[64:67]// 000000009648: D3D70040 0D03D188
	buffer_load_dwordx4 a[4:7], v34, s[24:27], 0 offen offset:1024// 000000009650: E05C1400 80860422
	v_mfma_i32_16x16x32_i8 v[64:67], a[138:139], v[234:235], v[64:67]// 000000009658: D3D70040 0D03D58A
	v_mfma_i32_16x16x32_i8 v[64:67], a[140:141], v[236:237], v[64:67]// 000000009660: D3D70040 0D03D98C
	v_mfma_i32_16x16x32_i8 v[64:67], a[142:143], v[238:239], v[64:67]// 000000009668: D3D70040 0D03DD8E
	v_mfma_i32_16x16x32_i8 v[68:71], a[128:129], v[240:241], v[68:71]// 000000009670: D3D70044 0D13E180
	buffer_load_dwordx4 a[8:11], v34, s[24:27], 0 offen offset:2048// 000000009678: E05C1800 80860822
	v_mfma_i32_16x16x32_i8 v[68:71], a[130:131], v[242:243], v[68:71]// 000000009680: D3D70044 0D13E582
	v_mfma_i32_16x16x32_i8 v[68:71], a[132:133], v[244:245], v[68:71]// 000000009688: D3D70044 0D13E984
	v_mfma_i32_16x16x32_i8 v[68:71], a[134:135], v[246:247], v[68:71]// 000000009690: D3D70044 0D13ED86
	v_mfma_i32_16x16x32_i8 v[68:71], a[136:137], v[248:249], v[68:71]// 000000009698: D3D70044 0D13F188
	buffer_load_dwordx4 a[12:15], v34, s[24:27], 0 offen offset:3072// 0000000096A0: E05C1C00 80860C22
	v_mfma_i32_16x16x32_i8 v[68:71], a[138:139], v[250:251], v[68:71]// 0000000096A8: D3D70044 0D13F58A
	v_mfma_i32_16x16x32_i8 v[68:71], a[140:141], v[252:253], v[68:71]// 0000000096B0: D3D70044 0D13F98C
	v_mfma_i32_16x16x32_i8 v[68:71], a[142:143], v[254:255], v[68:71]// 0000000096B8: D3D70044 0D13FD8E
	v_mfma_i32_16x16x32_i8 v[72:75], a[144:145], v[224:225], v[72:75]// 0000000096C0: D3D70048 0D23C190
	buffer_load_dwordx4 a[16:19], v35, s[24:27], 0 offen       // 0000000096C8: E05C1000 80861023
	v_mfma_i32_16x16x32_i8 v[72:75], a[146:147], v[226:227], v[72:75]// 0000000096D0: D3D70048 0D23C592
	v_mfma_i32_16x16x32_i8 v[72:75], a[148:149], v[228:229], v[72:75]// 0000000096D8: D3D70048 0D23C994
	v_mfma_i32_16x16x32_i8 v[72:75], a[150:151], v[230:231], v[72:75]// 0000000096E0: D3D70048 0D23CD96
	v_mfma_i32_16x16x32_i8 v[72:75], a[152:153], v[232:233], v[72:75]// 0000000096E8: D3D70048 0D23D198
	buffer_load_dwordx4 a[20:23], v35, s[24:27], 0 offen offset:1024// 0000000096F0: E05C1400 80861423
	v_mfma_i32_16x16x32_i8 v[72:75], a[154:155], v[234:235], v[72:75]// 0000000096F8: D3D70048 0D23D59A
	v_mfma_i32_16x16x32_i8 v[72:75], a[156:157], v[236:237], v[72:75]// 000000009700: D3D70048 0D23D99C
	v_mfma_i32_16x16x32_i8 v[72:75], a[158:159], v[238:239], v[72:75]// 000000009708: D3D70048 0D23DD9E
	v_mfma_i32_16x16x32_i8 v[76:79], a[144:145], v[240:241], v[76:79]// 000000009710: D3D7004C 0D33E190
	buffer_load_dwordx4 a[24:27], v35, s[24:27], 0 offen offset:2048// 000000009718: E05C1800 80861823
	v_mfma_i32_16x16x32_i8 v[76:79], a[146:147], v[242:243], v[76:79]// 000000009720: D3D7004C 0D33E592
	v_mfma_i32_16x16x32_i8 v[76:79], a[148:149], v[244:245], v[76:79]// 000000009728: D3D7004C 0D33E994
	v_mfma_i32_16x16x32_i8 v[76:79], a[150:151], v[246:247], v[76:79]// 000000009730: D3D7004C 0D33ED96
	v_mfma_i32_16x16x32_i8 v[76:79], a[152:153], v[248:249], v[76:79]// 000000009738: D3D7004C 0D33F198
	buffer_load_dwordx4 a[28:31], v35, s[24:27], 0 offen offset:3072// 000000009740: E05C1C00 80861C23
	v_mfma_i32_16x16x32_i8 v[76:79], a[154:155], v[250:251], v[76:79]// 000000009748: D3D7004C 0D33F59A
	v_mfma_i32_16x16x32_i8 v[76:79], a[156:157], v[252:253], v[76:79]// 000000009750: D3D7004C 0D33F99C
	v_mfma_i32_16x16x32_i8 v[76:79], a[158:159], v[254:255], v[76:79]// 000000009758: D3D7004C 0D33FD9E
	s_waitcnt vmcnt(28)                                        // 000000009760: BF8C4F7C
	v_mfma_i32_16x16x32_i8 v[80:83], a[160:161], v[224:225], v[80:83]// 000000009764: D3D70050 0D43C1A0
	buffer_load_dwordx4 a[32:35], v36, s[24:27], 0 offen       // 00000000976C: E05C1000 80862024
	v_mfma_i32_16x16x32_i8 v[80:83], a[162:163], v[226:227], v[80:83]// 000000009774: D3D70050 0D43C5A2
	v_mfma_i32_16x16x32_i8 v[80:83], a[164:165], v[228:229], v[80:83]// 00000000977C: D3D70050 0D43C9A4
	ds_read_b128 v[192:195], v2                                // 000000009784: D9FE0000 C0000002
	v_mfma_i32_16x16x32_i8 v[80:83], a[166:167], v[230:231], v[80:83]// 00000000978C: D3D70050 0D43CDA6
	v_mfma_i32_16x16x32_i8 v[80:83], a[168:169], v[232:233], v[80:83]// 000000009794: D3D70050 0D43D1A8
	buffer_load_dwordx4 a[36:39], v36, s[24:27], 0 offen offset:1024// 00000000979C: E05C1400 80862424
	v_mfma_i32_16x16x32_i8 v[80:83], a[170:171], v[234:235], v[80:83]// 0000000097A4: D3D70050 0D43D5AA
	v_mfma_i32_16x16x32_i8 v[80:83], a[172:173], v[236:237], v[80:83]// 0000000097AC: D3D70050 0D43D9AC
	ds_read_b128 v[196:199], v2 offset:64                      // 0000000097B4: D9FE0040 C4000002
	v_mfma_i32_16x16x32_i8 v[80:83], a[174:175], v[238:239], v[80:83]// 0000000097BC: D3D70050 0D43DDAE
	v_mfma_i32_16x16x32_i8 v[84:87], a[160:161], v[240:241], v[84:87]// 0000000097C4: D3D70054 0D53E1A0
	buffer_load_dwordx4 a[40:43], v36, s[24:27], 0 offen offset:2048// 0000000097CC: E05C1800 80862824
	v_mfma_i32_16x16x32_i8 v[84:87], a[162:163], v[242:243], v[84:87]// 0000000097D4: D3D70054 0D53E5A2
	v_mfma_i32_16x16x32_i8 v[84:87], a[164:165], v[244:245], v[84:87]// 0000000097DC: D3D70054 0D53E9A4
	ds_read_b128 v[200:203], v2 offset:128                     // 0000000097E4: D9FE0080 C8000002
	v_mfma_i32_16x16x32_i8 v[84:87], a[166:167], v[246:247], v[84:87]// 0000000097EC: D3D70054 0D53EDA6
	v_mfma_i32_16x16x32_i8 v[84:87], a[168:169], v[248:249], v[84:87]// 0000000097F4: D3D70054 0D53F1A8
	buffer_load_dwordx4 a[44:47], v36, s[24:27], 0 offen offset:3072// 0000000097FC: E05C1C00 80862C24
	v_mfma_i32_16x16x32_i8 v[84:87], a[170:171], v[250:251], v[84:87]// 000000009804: D3D70054 0D53F5AA
	v_mfma_i32_16x16x32_i8 v[84:87], a[172:173], v[252:253], v[84:87]// 00000000980C: D3D70054 0D53F9AC
	ds_read_b128 v[204:207], v2 offset:192                     // 000000009814: D9FE00C0 CC000002
	v_mfma_i32_16x16x32_i8 v[84:87], a[174:175], v[254:255], v[84:87]// 00000000981C: D3D70054 0D53FDAE
	s_waitcnt vmcnt(28)                                        // 000000009824: BF8C4F7C
	v_mfma_i32_16x16x32_i8 v[88:91], a[176:177], v[224:225], v[88:91]// 000000009828: D3D70058 0D63C1B0
	buffer_load_dwordx4 a[48:51], v37, s[24:27], 0 offen       // 000000009830: E05C1000 80863025
	v_mfma_i32_16x16x32_i8 v[88:91], a[178:179], v[226:227], v[88:91]// 000000009838: D3D70058 0D63C5B2
	v_mfma_i32_16x16x32_i8 v[88:91], a[180:181], v[228:229], v[88:91]// 000000009840: D3D70058 0D63C9B4
	ds_read_b128 v[208:211], v2 offset:1024                    // 000000009848: D9FE0400 D0000002
	v_mfma_i32_16x16x32_i8 v[88:91], a[182:183], v[230:231], v[88:91]// 000000009850: D3D70058 0D63CDB6
	v_mfma_i32_16x16x32_i8 v[88:91], a[184:185], v[232:233], v[88:91]// 000000009858: D3D70058 0D63D1B8
	buffer_load_dwordx4 a[52:55], v37, s[24:27], 0 offen offset:1024// 000000009860: E05C1400 80863425
	v_mfma_i32_16x16x32_i8 v[88:91], a[186:187], v[234:235], v[88:91]// 000000009868: D3D70058 0D63D5BA
	v_mfma_i32_16x16x32_i8 v[88:91], a[188:189], v[236:237], v[88:91]// 000000009870: D3D70058 0D63D9BC
	ds_read_b128 v[212:215], v2 offset:1088                    // 000000009878: D9FE0440 D4000002
	v_mfma_i32_16x16x32_i8 v[88:91], a[190:191], v[238:239], v[88:91]// 000000009880: D3D70058 0D63DDBE
	v_mfma_i32_16x16x32_i8 v[92:95], a[176:177], v[240:241], v[92:95]// 000000009888: D3D7005C 0D73E1B0
	buffer_load_dwordx4 a[56:59], v37, s[24:27], 0 offen offset:2048// 000000009890: E05C1800 80863825
	v_mfma_i32_16x16x32_i8 v[92:95], a[178:179], v[242:243], v[92:95]// 000000009898: D3D7005C 0D73E5B2
	v_mfma_i32_16x16x32_i8 v[92:95], a[180:181], v[244:245], v[92:95]// 0000000098A0: D3D7005C 0D73E9B4
	ds_read_b128 v[216:219], v2 offset:1152                    // 0000000098A8: D9FE0480 D8000002
	v_mfma_i32_16x16x32_i8 v[92:95], a[182:183], v[246:247], v[92:95]// 0000000098B0: D3D7005C 0D73EDB6
	v_mfma_i32_16x16x32_i8 v[92:95], a[184:185], v[248:249], v[92:95]// 0000000098B8: D3D7005C 0D73F1B8
	buffer_load_dwordx4 a[60:63], v37, s[24:27], 0 offen offset:3072// 0000000098C0: E05C1C00 80863C25
	v_mfma_i32_16x16x32_i8 v[92:95], a[186:187], v[250:251], v[92:95]// 0000000098C8: D3D7005C 0D73F5BA
	v_mfma_i32_16x16x32_i8 v[92:95], a[188:189], v[252:253], v[92:95]// 0000000098D0: D3D7005C 0D73F9BC
	ds_read_b128 v[220:223], v2 offset:1216                    // 0000000098D8: D9FE04C0 DC000002
	v_mfma_i32_16x16x32_i8 v[92:95], a[190:191], v[254:255], v[92:95]// 0000000098E0: D3D7005C 0D73FDBE
	s_waitcnt vmcnt(28)                                        // 0000000098E8: BF8C4F7C
	v_mfma_i32_16x16x32_i8 v[96:99], a[192:193], v[224:225], v[96:99]// 0000000098EC: D3D70060 0D83C1C0
	buffer_load_dwordx4 a[64:67], v38, s[24:27], 0 offen       // 0000000098F4: E05C1000 80864026
	v_mfma_i32_16x16x32_i8 v[96:99], a[194:195], v[226:227], v[96:99]// 0000000098FC: D3D70060 0D83C5C2
	v_mfma_i32_16x16x32_i8 v[96:99], a[196:197], v[228:229], v[96:99]// 000000009904: D3D70060 0D83C9C4
	v_mfma_i32_16x16x32_i8 v[96:99], a[198:199], v[230:231], v[96:99]// 00000000990C: D3D70060 0D83CDC6
	v_mfma_i32_16x16x32_i8 v[96:99], a[200:201], v[232:233], v[96:99]// 000000009914: D3D70060 0D83D1C8
	buffer_load_dwordx4 a[68:71], v38, s[24:27], 0 offen offset:1024// 00000000991C: E05C1400 80864426
	v_mfma_i32_16x16x32_i8 v[96:99], a[202:203], v[234:235], v[96:99]// 000000009924: D3D70060 0D83D5CA
	v_mfma_i32_16x16x32_i8 v[96:99], a[204:205], v[236:237], v[96:99]// 00000000992C: D3D70060 0D83D9CC
	v_mfma_i32_16x16x32_i8 v[96:99], a[206:207], v[238:239], v[96:99]// 000000009934: D3D70060 0D83DDCE
	v_mfma_i32_16x16x32_i8 v[100:103], a[192:193], v[240:241], v[100:103]// 00000000993C: D3D70064 0D93E1C0
	buffer_load_dwordx4 a[72:75], v38, s[24:27], 0 offen offset:2048// 000000009944: E05C1800 80864826
	v_mfma_i32_16x16x32_i8 v[100:103], a[194:195], v[242:243], v[100:103]// 00000000994C: D3D70064 0D93E5C2
	v_mfma_i32_16x16x32_i8 v[100:103], a[196:197], v[244:245], v[100:103]// 000000009954: D3D70064 0D93E9C4
	v_mfma_i32_16x16x32_i8 v[100:103], a[198:199], v[246:247], v[100:103]// 00000000995C: D3D70064 0D93EDC6
	v_mfma_i32_16x16x32_i8 v[100:103], a[200:201], v[248:249], v[100:103]// 000000009964: D3D70064 0D93F1C8
	buffer_load_dwordx4 a[76:79], v38, s[24:27], 0 offen offset:3072// 00000000996C: E05C1C00 80864C26
	v_mfma_i32_16x16x32_i8 v[100:103], a[202:203], v[250:251], v[100:103]// 000000009974: D3D70064 0D93F5CA
	v_mfma_i32_16x16x32_i8 v[100:103], a[204:205], v[252:253], v[100:103]// 00000000997C: D3D70064 0D93F9CC
	v_mfma_i32_16x16x32_i8 v[100:103], a[206:207], v[254:255], v[100:103]// 000000009984: D3D70064 0D93FDCE
	s_waitcnt vmcnt(28)                                        // 00000000998C: BF8C4F7C
	v_mfma_i32_16x16x32_i8 v[104:107], a[208:209], v[224:225], v[104:107]// 000000009990: D3D70068 0DA3C1D0
	buffer_load_dwordx4 a[80:83], v39, s[24:27], 0 offen       // 000000009998: E05C1000 80865027
	v_mfma_i32_16x16x32_i8 v[104:107], a[210:211], v[226:227], v[104:107]// 0000000099A0: D3D70068 0DA3C5D2
	v_mfma_i32_16x16x32_i8 v[104:107], a[212:213], v[228:229], v[104:107]// 0000000099A8: D3D70068 0DA3C9D4
	v_mfma_i32_16x16x32_i8 v[104:107], a[214:215], v[230:231], v[104:107]// 0000000099B0: D3D70068 0DA3CDD6
	v_mfma_i32_16x16x32_i8 v[104:107], a[216:217], v[232:233], v[104:107]// 0000000099B8: D3D70068 0DA3D1D8
	buffer_load_dwordx4 a[84:87], v39, s[24:27], 0 offen offset:1024// 0000000099C0: E05C1400 80865427
	v_mfma_i32_16x16x32_i8 v[104:107], a[218:219], v[234:235], v[104:107]// 0000000099C8: D3D70068 0DA3D5DA
	v_mfma_i32_16x16x32_i8 v[104:107], a[220:221], v[236:237], v[104:107]// 0000000099D0: D3D70068 0DA3D9DC
	v_mfma_i32_16x16x32_i8 v[104:107], a[222:223], v[238:239], v[104:107]// 0000000099D8: D3D70068 0DA3DDDE
	v_mfma_i32_16x16x32_i8 v[108:111], a[208:209], v[240:241], v[108:111]// 0000000099E0: D3D7006C 0DB3E1D0
	buffer_load_dwordx4 a[88:91], v39, s[24:27], 0 offen offset:2048// 0000000099E8: E05C1800 80865827
	v_mfma_i32_16x16x32_i8 v[108:111], a[210:211], v[242:243], v[108:111]// 0000000099F0: D3D7006C 0DB3E5D2
	v_mfma_i32_16x16x32_i8 v[108:111], a[212:213], v[244:245], v[108:111]// 0000000099F8: D3D7006C 0DB3E9D4
	v_mfma_i32_16x16x32_i8 v[108:111], a[214:215], v[246:247], v[108:111]// 000000009A00: D3D7006C 0DB3EDD6
	v_mfma_i32_16x16x32_i8 v[108:111], a[216:217], v[248:249], v[108:111]// 000000009A08: D3D7006C 0DB3F1D8
	buffer_load_dwordx4 a[92:95], v39, s[24:27], 0 offen offset:3072// 000000009A10: E05C1C00 80865C27
	v_mfma_i32_16x16x32_i8 v[108:111], a[218:219], v[250:251], v[108:111]// 000000009A18: D3D7006C 0DB3F5DA
	v_mfma_i32_16x16x32_i8 v[108:111], a[220:221], v[252:253], v[108:111]// 000000009A20: D3D7006C 0DB3F9DC
	v_mfma_i32_16x16x32_i8 v[108:111], a[222:223], v[254:255], v[108:111]// 000000009A28: D3D7006C 0DB3FDDE
	s_waitcnt vmcnt(28)                                        // 000000009A30: BF8C4F7C
	v_mfma_i32_16x16x32_i8 v[112:115], a[224:225], v[224:225], v[112:115]// 000000009A34: D3D70070 0DC3C1E0
	buffer_load_dwordx4 a[96:99], v40, s[24:27], 0 offen       // 000000009A3C: E05C1000 80866028
	v_mfma_i32_16x16x32_i8 v[112:115], a[226:227], v[226:227], v[112:115]// 000000009A44: D3D70070 0DC3C5E2
	v_mfma_i32_16x16x32_i8 v[112:115], a[228:229], v[228:229], v[112:115]// 000000009A4C: D3D70070 0DC3C9E4
	v_mfma_i32_16x16x32_i8 v[112:115], a[230:231], v[230:231], v[112:115]// 000000009A54: D3D70070 0DC3CDE6
	v_mfma_i32_16x16x32_i8 v[112:115], a[232:233], v[232:233], v[112:115]// 000000009A5C: D3D70070 0DC3D1E8
	buffer_load_dwordx4 a[100:103], v40, s[24:27], 0 offen offset:1024// 000000009A64: E05C1400 80866428
	v_mfma_i32_16x16x32_i8 v[112:115], a[234:235], v[234:235], v[112:115]// 000000009A6C: D3D70070 0DC3D5EA
	v_mfma_i32_16x16x32_i8 v[112:115], a[236:237], v[236:237], v[112:115]// 000000009A74: D3D70070 0DC3D9EC
	v_mfma_i32_16x16x32_i8 v[112:115], a[238:239], v[238:239], v[112:115]// 000000009A7C: D3D70070 0DC3DDEE
	v_mfma_i32_16x16x32_i8 v[116:119], a[224:225], v[240:241], v[116:119]// 000000009A84: D3D70074 0DD3E1E0
	buffer_load_dwordx4 a[104:107], v40, s[24:27], 0 offen offset:2048// 000000009A8C: E05C1800 80866828
	v_mfma_i32_16x16x32_i8 v[116:119], a[226:227], v[242:243], v[116:119]// 000000009A94: D3D70074 0DD3E5E2
	v_mfma_i32_16x16x32_i8 v[116:119], a[228:229], v[244:245], v[116:119]// 000000009A9C: D3D70074 0DD3E9E4
	v_mfma_i32_16x16x32_i8 v[116:119], a[230:231], v[246:247], v[116:119]// 000000009AA4: D3D70074 0DD3EDE6
	v_mfma_i32_16x16x32_i8 v[116:119], a[232:233], v[248:249], v[116:119]// 000000009AAC: D3D70074 0DD3F1E8
	buffer_load_dwordx4 a[108:111], v40, s[24:27], 0 offen offset:3072// 000000009AB4: E05C1C00 80866C28
	v_mfma_i32_16x16x32_i8 v[116:119], a[234:235], v[250:251], v[116:119]// 000000009ABC: D3D70074 0DD3F5EA
	v_mfma_i32_16x16x32_i8 v[116:119], a[236:237], v[252:253], v[116:119]// 000000009AC4: D3D70074 0DD3F9EC
	v_mfma_i32_16x16x32_i8 v[116:119], a[238:239], v[254:255], v[116:119]// 000000009ACC: D3D70074 0DD3FDEE
	s_waitcnt vmcnt(28)                                        // 000000009AD4: BF8C4F7C
	v_mfma_i32_16x16x32_i8 v[120:123], a[240:241], v[224:225], v[120:123]// 000000009AD8: D3D70078 0DE3C1F0
	buffer_load_dwordx4 a[112:115], v41, s[24:27], 0 offen     // 000000009AE0: E05C1000 80867029
	v_mfma_i32_16x16x32_i8 v[120:123], a[242:243], v[226:227], v[120:123]// 000000009AE8: D3D70078 0DE3C5F2
	v_mfma_i32_16x16x32_i8 v[120:123], a[244:245], v[228:229], v[120:123]// 000000009AF0: D3D70078 0DE3C9F4
	v_mfma_i32_16x16x32_i8 v[120:123], a[246:247], v[230:231], v[120:123]// 000000009AF8: D3D70078 0DE3CDF6
	v_mfma_i32_16x16x32_i8 v[120:123], a[248:249], v[232:233], v[120:123]// 000000009B00: D3D70078 0DE3D1F8
	buffer_load_dwordx4 a[116:119], v41, s[24:27], 0 offen offset:1024// 000000009B08: E05C1400 80867429
	v_mfma_i32_16x16x32_i8 v[120:123], a[250:251], v[234:235], v[120:123]// 000000009B10: D3D70078 0DE3D5FA
	v_mfma_i32_16x16x32_i8 v[120:123], a[252:253], v[236:237], v[120:123]// 000000009B18: D3D70078 0DE3D9FC
	v_mfma_i32_16x16x32_i8 v[120:123], a[254:255], v[238:239], v[120:123]// 000000009B20: D3D70078 0DE3DDFE
	v_mfma_i32_16x16x32_i8 v[124:127], a[240:241], v[240:241], v[124:127]// 000000009B28: D3D7007C 0DF3E1F0
	buffer_load_dwordx4 a[120:123], v41, s[24:27], 0 offen offset:2048// 000000009B30: E05C1800 80867829
	v_mfma_i32_16x16x32_i8 v[124:127], a[242:243], v[242:243], v[124:127]// 000000009B38: D3D7007C 0DF3E5F2
	v_mfma_i32_16x16x32_i8 v[124:127], a[244:245], v[244:245], v[124:127]// 000000009B40: D3D7007C 0DF3E9F4
	v_mfma_i32_16x16x32_i8 v[124:127], a[246:247], v[246:247], v[124:127]// 000000009B48: D3D7007C 0DF3EDF6
	v_mfma_i32_16x16x32_i8 v[124:127], a[248:249], v[248:249], v[124:127]// 000000009B50: D3D7007C 0DF3F1F8
	buffer_load_dwordx4 a[124:127], v41, s[24:27], 0 offen offset:3072// 000000009B58: E05C1C00 80867C29
	v_mfma_i32_16x16x32_i8 v[124:127], a[250:251], v[250:251], v[124:127]// 000000009B60: D3D7007C 0DF3F5FA
	v_mfma_i32_16x16x32_i8 v[124:127], a[252:253], v[252:253], v[124:127]// 000000009B68: D3D7007C 0DF3F9FC
	v_mfma_i32_16x16x32_i8 v[124:127], a[254:255], v[254:255], v[124:127]// 000000009B70: D3D7007C 0DF3FDFE
	s_add_u32 s60, 0x200, s80                                  // 000000009B78: 803C50FF 00000200
	s_cmp_lt_u32 s60, s81                                      // 000000009B80: BF0A513C
	s_cselect_b32 s57, s57, 0                                  // 000000009B84: 85398039
	s_add_u32 s60, 0x200, s80                                  // 000000009B88: 803C50FF 00000200
	s_cmp_lt_u32 s60, s81                                      // 000000009B90: BF0A513C
	s_cselect_b32 s58, s58, 0                                  // 000000009B94: 853A803A
	s_add_u32 s20, s57, s20                                    // 000000009B98: 80141439
	s_addc_u32 s21, 0, s21                                     // 000000009B9C: 82151580
	s_add_u32 s24, s58, s24                                    // 000000009BA0: 8018183A
	s_addc_u32 s25, 0, s25                                     // 000000009BA4: 82191980
	s_add_u32 s92, s90, s92                                    // 000000009BA8: 805C5C5A
	s_addc_u32 s93, 0, s93                                     // 000000009BAC: 825D5D80
	s_addk_i32 s80, 0x100                                      // 000000009BB0: B7500100
	s_cmp_lt_i32 s80, s81                                      // 000000009BB4: BF045150
	s_cbranch_scc0 label_1B70                                  // 000000009BB8: BF840001
	s_branch label_15CF                                        // 000000009BBC: BF82FA5F

0000000000009bc0 <label_1B70>:
	s_mov_b32 s36, -1                                          // 000000009BC0: BEA400C1
	s_mov_b32 s37, -1                                          // 000000009BC4: BEA500C1
	s_mov_b64 s[60:61], 0                                      // 000000009BC8: BEBC0180
	s_cmp_lt_u32 s82, s66                                      // 000000009BCC: BF0A4252
	s_cselect_b64 s[20:21], s[36:37], s[60:61]                 // 000000009BD0: 85943C24
	s_cmp_lt_u32 s83, s66                                      // 000000009BD4: BF0A4253
	s_cselect_b64 s[22:23], s[36:37], s[60:61]                 // 000000009BD8: 85963C24
	s_cmp_lt_u32 s84, s66                                      // 000000009BDC: BF0A4254
	s_cselect_b64 s[24:25], s[36:37], s[60:61]                 // 000000009BE0: 85983C24
	s_cmp_lt_u32 s85, s66                                      // 000000009BE4: BF0A4255
	s_cselect_b64 s[26:27], s[36:37], s[60:61]                 // 000000009BE8: 859A3C24
	s_cmp_lt_u32 s86, s66                                      // 000000009BEC: BF0A4256
	s_cselect_b64 s[28:29], s[36:37], s[60:61]                 // 000000009BF0: 859C3C24
	s_cmp_lt_u32 s87, s66                                      // 000000009BF4: BF0A4257
	s_cselect_b64 s[30:31], s[36:37], s[60:61]                 // 000000009BF8: 859E3C24
	s_cmp_lt_u32 s88, s66                                      // 000000009BFC: BF0A4258
	s_cselect_b64 s[32:33], s[36:37], s[60:61]                 // 000000009C00: 85A03C24
	s_cmp_lt_u32 s89, s66                                      // 000000009C04: BF0A4259
	s_cselect_b64 s[34:35], s[36:37], s[60:61]                 // 000000009C08: 85A23C24
	v_cvt_f32_i32_e32 v128, v128                               // 000000009C0C: 7F000B80
	v_cvt_f32_i32_e32 v129, v129                               // 000000009C10: 7F020B81
	v_cvt_f32_i32_e32 v130, v130                               // 000000009C14: 7F040B82
	v_cvt_f32_i32_e32 v131, v131                               // 000000009C18: 7F060B83
	v_mul_f32_e32 v128, v14, v128                              // 000000009C1C: 0B01010E
	v_mul_f32_e32 v129, v14, v129                              // 000000009C20: 0B03030E
	v_mul_f32_e32 v130, v14, v130                              // 000000009C24: 0B05050E
	v_mul_f32_e32 v131, v14, v131                              // 000000009C28: 0B07070E
	v_mul_f32_dpp v128, v16, v128 row_newbcast:0 row_mask:0xf bank_mask:0xf// 000000009C2C: 0B0100FA FF015010
	v_mul_f32_dpp v129, v16, v129 row_newbcast:1 row_mask:0xf bank_mask:0xf// 000000009C34: 0B0302FA FF015110
	v_mul_f32_dpp v130, v16, v130 row_newbcast:2 row_mask:0xf bank_mask:0xf// 000000009C3C: 0B0504FA FF015210
	v_mul_f32_dpp v131, v16, v131 row_newbcast:3 row_mask:0xf bank_mask:0xf// 000000009C44: 0B0706FA FF015310
	v_cvt_f32_i32_e32 v132, v132                               // 000000009C4C: 7F080B84
	v_cvt_f32_i32_e32 v133, v133                               // 000000009C50: 7F0A0B85
	v_cvt_f32_i32_e32 v134, v134                               // 000000009C54: 7F0C0B86
	v_cvt_f32_i32_e32 v135, v135                               // 000000009C58: 7F0E0B87
	v_mul_f32_e32 v132, v15, v132                              // 000000009C5C: 0B09090F
	v_mul_f32_e32 v133, v15, v133                              // 000000009C60: 0B0B0B0F
	v_mul_f32_e32 v134, v15, v134                              // 000000009C64: 0B0D0D0F
	v_mul_f32_e32 v135, v15, v135                              // 000000009C68: 0B0F0F0F
	v_mul_f32_dpp v132, v16, v132 row_newbcast:0 row_mask:0xf bank_mask:0xf// 000000009C6C: 0B0908FA FF015010
	v_mul_f32_dpp v133, v16, v133 row_newbcast:1 row_mask:0xf bank_mask:0xf// 000000009C74: 0B0B0AFA FF015110
	v_mul_f32_dpp v134, v16, v134 row_newbcast:2 row_mask:0xf bank_mask:0xf// 000000009C7C: 0B0D0CFA FF015210
	v_mul_f32_dpp v135, v16, v135 row_newbcast:3 row_mask:0xf bank_mask:0xf// 000000009C84: 0B0F0EFA FF015310
	v_cvt_f32_i32_e32 v136, v136                               // 000000009C8C: 7F100B88
	v_cvt_f32_i32_e32 v137, v137                               // 000000009C90: 7F120B89
	v_cvt_f32_i32_e32 v138, v138                               // 000000009C94: 7F140B8A
	v_cvt_f32_i32_e32 v139, v139                               // 000000009C98: 7F160B8B
	v_mul_f32_e32 v136, v14, v136                              // 000000009C9C: 0B11110E
	v_mul_f32_e32 v137, v14, v137                              // 000000009CA0: 0B13130E
	v_mul_f32_e32 v138, v14, v138                              // 000000009CA4: 0B15150E
	v_mul_f32_e32 v139, v14, v139                              // 000000009CA8: 0B17170E
	v_mul_f32_dpp v136, v16, v136 row_newbcast:4 row_mask:0xf bank_mask:0xf// 000000009CAC: 0B1110FA FF015410
	v_mul_f32_dpp v137, v16, v137 row_newbcast:5 row_mask:0xf bank_mask:0xf// 000000009CB4: 0B1312FA FF015510
	v_mul_f32_dpp v138, v16, v138 row_newbcast:6 row_mask:0xf bank_mask:0xf// 000000009CBC: 0B1514FA FF015610
	v_mul_f32_dpp v139, v16, v139 row_newbcast:7 row_mask:0xf bank_mask:0xf// 000000009CC4: 0B1716FA FF015710
	v_cvt_f32_i32_e32 v140, v140                               // 000000009CCC: 7F180B8C
	v_cvt_f32_i32_e32 v141, v141                               // 000000009CD0: 7F1A0B8D
	v_cvt_f32_i32_e32 v142, v142                               // 000000009CD4: 7F1C0B8E
	v_cvt_f32_i32_e32 v143, v143                               // 000000009CD8: 7F1E0B8F
	v_mul_f32_e32 v140, v15, v140                              // 000000009CDC: 0B19190F
	v_mul_f32_e32 v141, v15, v141                              // 000000009CE0: 0B1B1B0F
	v_mul_f32_e32 v142, v15, v142                              // 000000009CE4: 0B1D1D0F
	v_mul_f32_e32 v143, v15, v143                              // 000000009CE8: 0B1F1F0F
	v_mul_f32_dpp v140, v16, v140 row_newbcast:4 row_mask:0xf bank_mask:0xf// 000000009CEC: 0B1918FA FF015410
	v_mul_f32_dpp v141, v16, v141 row_newbcast:5 row_mask:0xf bank_mask:0xf// 000000009CF4: 0B1B1AFA FF015510
	v_mul_f32_dpp v142, v16, v142 row_newbcast:6 row_mask:0xf bank_mask:0xf// 000000009CFC: 0B1D1CFA FF015610
	v_mul_f32_dpp v143, v16, v143 row_newbcast:7 row_mask:0xf bank_mask:0xf// 000000009D04: 0B1F1EFA FF015710
	v_cvt_f32_i32_e32 v144, v144                               // 000000009D0C: 7F200B90
	v_cvt_f32_i32_e32 v145, v145                               // 000000009D10: 7F220B91
	v_cvt_f32_i32_e32 v146, v146                               // 000000009D14: 7F240B92
	v_cvt_f32_i32_e32 v147, v147                               // 000000009D18: 7F260B93
	v_mul_f32_e32 v144, v14, v144                              // 000000009D1C: 0B21210E
	v_mul_f32_e32 v145, v14, v145                              // 000000009D20: 0B23230E
	v_mul_f32_e32 v146, v14, v146                              // 000000009D24: 0B25250E
	v_mul_f32_e32 v147, v14, v147                              // 000000009D28: 0B27270E
	v_mul_f32_dpp v144, v16, v144 row_newbcast:8 row_mask:0xf bank_mask:0xf// 000000009D2C: 0B2120FA FF015810
	v_mul_f32_dpp v145, v16, v145 row_newbcast:9 row_mask:0xf bank_mask:0xf// 000000009D34: 0B2322FA FF015910
	v_mul_f32_dpp v146, v16, v146 row_newbcast:10 row_mask:0xf bank_mask:0xf// 000000009D3C: 0B2524FA FF015A10
	v_mul_f32_dpp v147, v16, v147 row_newbcast:11 row_mask:0xf bank_mask:0xf// 000000009D44: 0B2726FA FF015B10
	v_cvt_f32_i32_e32 v148, v148                               // 000000009D4C: 7F280B94
	v_cvt_f32_i32_e32 v149, v149                               // 000000009D50: 7F2A0B95
	v_cvt_f32_i32_e32 v150, v150                               // 000000009D54: 7F2C0B96
	v_cvt_f32_i32_e32 v151, v151                               // 000000009D58: 7F2E0B97
	v_mul_f32_e32 v148, v15, v148                              // 000000009D5C: 0B29290F
	v_mul_f32_e32 v149, v15, v149                              // 000000009D60: 0B2B2B0F
	v_mul_f32_e32 v150, v15, v150                              // 000000009D64: 0B2D2D0F
	v_mul_f32_e32 v151, v15, v151                              // 000000009D68: 0B2F2F0F
	v_mul_f32_dpp v148, v16, v148 row_newbcast:8 row_mask:0xf bank_mask:0xf// 000000009D6C: 0B2928FA FF015810
	v_mul_f32_dpp v149, v16, v149 row_newbcast:9 row_mask:0xf bank_mask:0xf// 000000009D74: 0B2B2AFA FF015910
	v_mul_f32_dpp v150, v16, v150 row_newbcast:10 row_mask:0xf bank_mask:0xf// 000000009D7C: 0B2D2CFA FF015A10
	v_mul_f32_dpp v151, v16, v151 row_newbcast:11 row_mask:0xf bank_mask:0xf// 000000009D84: 0B2F2EFA FF015B10
	v_cvt_f32_i32_e32 v152, v152                               // 000000009D8C: 7F300B98
	v_cvt_f32_i32_e32 v153, v153                               // 000000009D90: 7F320B99
	v_cvt_f32_i32_e32 v154, v154                               // 000000009D94: 7F340B9A
	v_cvt_f32_i32_e32 v155, v155                               // 000000009D98: 7F360B9B
	v_mul_f32_e32 v152, v14, v152                              // 000000009D9C: 0B31310E
	v_mul_f32_e32 v153, v14, v153                              // 000000009DA0: 0B33330E
	v_mul_f32_e32 v154, v14, v154                              // 000000009DA4: 0B35350E
	v_mul_f32_e32 v155, v14, v155                              // 000000009DA8: 0B37370E
	v_mul_f32_dpp v152, v16, v152 row_newbcast:12 row_mask:0xf bank_mask:0xf// 000000009DAC: 0B3130FA FF015C10
	v_mul_f32_dpp v153, v16, v153 row_newbcast:13 row_mask:0xf bank_mask:0xf// 000000009DB4: 0B3332FA FF015D10
	v_mul_f32_dpp v154, v16, v154 row_newbcast:14 row_mask:0xf bank_mask:0xf// 000000009DBC: 0B3534FA FF015E10
	v_mul_f32_dpp v155, v16, v155 row_newbcast:15 row_mask:0xf bank_mask:0xf// 000000009DC4: 0B3736FA FF015F10
	v_cvt_f32_i32_e32 v156, v156                               // 000000009DCC: 7F380B9C
	v_cvt_f32_i32_e32 v157, v157                               // 000000009DD0: 7F3A0B9D
	v_cvt_f32_i32_e32 v158, v158                               // 000000009DD4: 7F3C0B9E
	v_cvt_f32_i32_e32 v159, v159                               // 000000009DD8: 7F3E0B9F
	v_mul_f32_e32 v156, v15, v156                              // 000000009DDC: 0B39390F
	v_mul_f32_e32 v157, v15, v157                              // 000000009DE0: 0B3B3B0F
	v_mul_f32_e32 v158, v15, v158                              // 000000009DE4: 0B3D3D0F
	v_mul_f32_e32 v159, v15, v159                              // 000000009DE8: 0B3F3F0F
	v_mul_f32_dpp v156, v16, v156 row_newbcast:12 row_mask:0xf bank_mask:0xf// 000000009DEC: 0B3938FA FF015C10
	v_mul_f32_dpp v157, v16, v157 row_newbcast:13 row_mask:0xf bank_mask:0xf// 000000009DF4: 0B3B3AFA FF015D10
	v_mul_f32_dpp v158, v16, v158 row_newbcast:14 row_mask:0xf bank_mask:0xf// 000000009DFC: 0B3D3CFA FF015E10
	v_mul_f32_dpp v159, v16, v159 row_newbcast:15 row_mask:0xf bank_mask:0xf// 000000009E04: 0B3F3EFA FF015F10
	v_cvt_f32_i32_e32 v160, v160                               // 000000009E0C: 7F400BA0
	v_cvt_f32_i32_e32 v161, v161                               // 000000009E10: 7F420BA1
	v_cvt_f32_i32_e32 v162, v162                               // 000000009E14: 7F440BA2
	v_cvt_f32_i32_e32 v163, v163                               // 000000009E18: 7F460BA3
	v_mul_f32_e32 v160, v14, v160                              // 000000009E1C: 0B41410E
	v_mul_f32_e32 v161, v14, v161                              // 000000009E20: 0B43430E
	v_mul_f32_e32 v162, v14, v162                              // 000000009E24: 0B45450E
	v_mul_f32_e32 v163, v14, v163                              // 000000009E28: 0B47470E
	v_mul_f32_dpp v160, v17, v160 row_newbcast:0 row_mask:0xf bank_mask:0xf// 000000009E2C: 0B4140FA FF015011
	v_mul_f32_dpp v161, v17, v161 row_newbcast:1 row_mask:0xf bank_mask:0xf// 000000009E34: 0B4342FA FF015111
	v_mul_f32_dpp v162, v17, v162 row_newbcast:2 row_mask:0xf bank_mask:0xf// 000000009E3C: 0B4544FA FF015211
	v_mul_f32_dpp v163, v17, v163 row_newbcast:3 row_mask:0xf bank_mask:0xf// 000000009E44: 0B4746FA FF015311
	v_cvt_f32_i32_e32 v164, v164                               // 000000009E4C: 7F480BA4
	v_cvt_f32_i32_e32 v165, v165                               // 000000009E50: 7F4A0BA5
	v_cvt_f32_i32_e32 v166, v166                               // 000000009E54: 7F4C0BA6
	v_cvt_f32_i32_e32 v167, v167                               // 000000009E58: 7F4E0BA7
	v_mul_f32_e32 v164, v15, v164                              // 000000009E5C: 0B49490F
	v_mul_f32_e32 v165, v15, v165                              // 000000009E60: 0B4B4B0F
	v_mul_f32_e32 v166, v15, v166                              // 000000009E64: 0B4D4D0F
	v_mul_f32_e32 v167, v15, v167                              // 000000009E68: 0B4F4F0F
	v_mul_f32_dpp v164, v17, v164 row_newbcast:0 row_mask:0xf bank_mask:0xf// 000000009E6C: 0B4948FA FF015011
	v_mul_f32_dpp v165, v17, v165 row_newbcast:1 row_mask:0xf bank_mask:0xf// 000000009E74: 0B4B4AFA FF015111
	v_mul_f32_dpp v166, v17, v166 row_newbcast:2 row_mask:0xf bank_mask:0xf// 000000009E7C: 0B4D4CFA FF015211
	v_mul_f32_dpp v167, v17, v167 row_newbcast:3 row_mask:0xf bank_mask:0xf// 000000009E84: 0B4F4EFA FF015311
	v_cvt_f32_i32_e32 v168, v168                               // 000000009E8C: 7F500BA8
	v_cvt_f32_i32_e32 v169, v169                               // 000000009E90: 7F520BA9
	v_cvt_f32_i32_e32 v170, v170                               // 000000009E94: 7F540BAA
	v_cvt_f32_i32_e32 v171, v171                               // 000000009E98: 7F560BAB
	v_mul_f32_e32 v168, v14, v168                              // 000000009E9C: 0B51510E
	v_mul_f32_e32 v169, v14, v169                              // 000000009EA0: 0B53530E
	v_mul_f32_e32 v170, v14, v170                              // 000000009EA4: 0B55550E
	v_mul_f32_e32 v171, v14, v171                              // 000000009EA8: 0B57570E
	v_mul_f32_dpp v168, v17, v168 row_newbcast:4 row_mask:0xf bank_mask:0xf// 000000009EAC: 0B5150FA FF015411
	v_mul_f32_dpp v169, v17, v169 row_newbcast:5 row_mask:0xf bank_mask:0xf// 000000009EB4: 0B5352FA FF015511
	v_mul_f32_dpp v170, v17, v170 row_newbcast:6 row_mask:0xf bank_mask:0xf// 000000009EBC: 0B5554FA FF015611
	v_mul_f32_dpp v171, v17, v171 row_newbcast:7 row_mask:0xf bank_mask:0xf// 000000009EC4: 0B5756FA FF015711
	v_cvt_f32_i32_e32 v172, v172                               // 000000009ECC: 7F580BAC
	v_cvt_f32_i32_e32 v173, v173                               // 000000009ED0: 7F5A0BAD
	v_cvt_f32_i32_e32 v174, v174                               // 000000009ED4: 7F5C0BAE
	v_cvt_f32_i32_e32 v175, v175                               // 000000009ED8: 7F5E0BAF
	v_mul_f32_e32 v172, v15, v172                              // 000000009EDC: 0B59590F
	v_mul_f32_e32 v173, v15, v173                              // 000000009EE0: 0B5B5B0F
	v_mul_f32_e32 v174, v15, v174                              // 000000009EE4: 0B5D5D0F
	v_mul_f32_e32 v175, v15, v175                              // 000000009EE8: 0B5F5F0F
	v_mul_f32_dpp v172, v17, v172 row_newbcast:4 row_mask:0xf bank_mask:0xf// 000000009EEC: 0B5958FA FF015411
	v_mul_f32_dpp v173, v17, v173 row_newbcast:5 row_mask:0xf bank_mask:0xf// 000000009EF4: 0B5B5AFA FF015511
	v_mul_f32_dpp v174, v17, v174 row_newbcast:6 row_mask:0xf bank_mask:0xf// 000000009EFC: 0B5D5CFA FF015611
	v_mul_f32_dpp v175, v17, v175 row_newbcast:7 row_mask:0xf bank_mask:0xf// 000000009F04: 0B5F5EFA FF015711
	v_cvt_f32_i32_e32 v176, v176                               // 000000009F0C: 7F600BB0
	v_cvt_f32_i32_e32 v177, v177                               // 000000009F10: 7F620BB1
	v_cvt_f32_i32_e32 v178, v178                               // 000000009F14: 7F640BB2
	v_cvt_f32_i32_e32 v179, v179                               // 000000009F18: 7F660BB3
	v_mul_f32_e32 v176, v14, v176                              // 000000009F1C: 0B61610E
	v_mul_f32_e32 v177, v14, v177                              // 000000009F20: 0B63630E
	v_mul_f32_e32 v178, v14, v178                              // 000000009F24: 0B65650E
	v_mul_f32_e32 v179, v14, v179                              // 000000009F28: 0B67670E
	v_mul_f32_dpp v176, v17, v176 row_newbcast:8 row_mask:0xf bank_mask:0xf// 000000009F2C: 0B6160FA FF015811
	v_mul_f32_dpp v177, v17, v177 row_newbcast:9 row_mask:0xf bank_mask:0xf// 000000009F34: 0B6362FA FF015911
	v_mul_f32_dpp v178, v17, v178 row_newbcast:10 row_mask:0xf bank_mask:0xf// 000000009F3C: 0B6564FA FF015A11
	v_mul_f32_dpp v179, v17, v179 row_newbcast:11 row_mask:0xf bank_mask:0xf// 000000009F44: 0B6766FA FF015B11
	v_cvt_f32_i32_e32 v180, v180                               // 000000009F4C: 7F680BB4
	v_cvt_f32_i32_e32 v181, v181                               // 000000009F50: 7F6A0BB5
	v_cvt_f32_i32_e32 v182, v182                               // 000000009F54: 7F6C0BB6
	v_cvt_f32_i32_e32 v183, v183                               // 000000009F58: 7F6E0BB7
	v_mul_f32_e32 v180, v15, v180                              // 000000009F5C: 0B69690F
	v_mul_f32_e32 v181, v15, v181                              // 000000009F60: 0B6B6B0F
	v_mul_f32_e32 v182, v15, v182                              // 000000009F64: 0B6D6D0F
	v_mul_f32_e32 v183, v15, v183                              // 000000009F68: 0B6F6F0F
	v_mul_f32_dpp v180, v17, v180 row_newbcast:8 row_mask:0xf bank_mask:0xf// 000000009F6C: 0B6968FA FF015811
	v_mul_f32_dpp v181, v17, v181 row_newbcast:9 row_mask:0xf bank_mask:0xf// 000000009F74: 0B6B6AFA FF015911
	v_mul_f32_dpp v182, v17, v182 row_newbcast:10 row_mask:0xf bank_mask:0xf// 000000009F7C: 0B6D6CFA FF015A11
	v_mul_f32_dpp v183, v17, v183 row_newbcast:11 row_mask:0xf bank_mask:0xf// 000000009F84: 0B6F6EFA FF015B11
	v_cvt_f32_i32_e32 v184, v184                               // 000000009F8C: 7F700BB8
	v_cvt_f32_i32_e32 v185, v185                               // 000000009F90: 7F720BB9
	v_cvt_f32_i32_e32 v186, v186                               // 000000009F94: 7F740BBA
	v_cvt_f32_i32_e32 v187, v187                               // 000000009F98: 7F760BBB
	v_mul_f32_e32 v184, v14, v184                              // 000000009F9C: 0B71710E
	v_mul_f32_e32 v185, v14, v185                              // 000000009FA0: 0B73730E
	v_mul_f32_e32 v186, v14, v186                              // 000000009FA4: 0B75750E
	v_mul_f32_e32 v187, v14, v187                              // 000000009FA8: 0B77770E
	v_mul_f32_dpp v184, v17, v184 row_newbcast:12 row_mask:0xf bank_mask:0xf// 000000009FAC: 0B7170FA FF015C11
	v_mul_f32_dpp v185, v17, v185 row_newbcast:13 row_mask:0xf bank_mask:0xf// 000000009FB4: 0B7372FA FF015D11
	v_mul_f32_dpp v186, v17, v186 row_newbcast:14 row_mask:0xf bank_mask:0xf// 000000009FBC: 0B7574FA FF015E11
	v_mul_f32_dpp v187, v17, v187 row_newbcast:15 row_mask:0xf bank_mask:0xf// 000000009FC4: 0B7776FA FF015F11
	v_cvt_f32_i32_e32 v188, v188                               // 000000009FCC: 7F780BBC
	v_cvt_f32_i32_e32 v189, v189                               // 000000009FD0: 7F7A0BBD
	v_cvt_f32_i32_e32 v190, v190                               // 000000009FD4: 7F7C0BBE
	v_cvt_f32_i32_e32 v191, v191                               // 000000009FD8: 7F7E0BBF
	v_mul_f32_e32 v188, v15, v188                              // 000000009FDC: 0B79790F
	v_mul_f32_e32 v189, v15, v189                              // 000000009FE0: 0B7B7B0F
	v_mul_f32_e32 v190, v15, v190                              // 000000009FE4: 0B7D7D0F
	v_mul_f32_e32 v191, v15, v191                              // 000000009FE8: 0B7F7F0F
	v_mul_f32_dpp v188, v17, v188 row_newbcast:12 row_mask:0xf bank_mask:0xf// 000000009FEC: 0B7978FA FF015C11
	v_mul_f32_dpp v189, v17, v189 row_newbcast:13 row_mask:0xf bank_mask:0xf// 000000009FF4: 0B7B7AFA FF015D11
	v_mul_f32_dpp v190, v17, v190 row_newbcast:14 row_mask:0xf bank_mask:0xf// 000000009FFC: 0B7D7CFA FF015E11
	v_mul_f32_dpp v191, v17, v191 row_newbcast:15 row_mask:0xf bank_mask:0xf// 00000000A004: 0B7F7EFA FF015F11
	v_cvt_f32_i32_e32 v64, v64                                 // 00000000A00C: 7E800B40
	v_cvt_f32_i32_e32 v65, v65                                 // 00000000A010: 7E820B41
	v_cvt_f32_i32_e32 v66, v66                                 // 00000000A014: 7E840B42
	v_cvt_f32_i32_e32 v67, v67                                 // 00000000A018: 7E860B43
	v_mul_f32_e32 v64, v14, v64                                // 00000000A01C: 0A80810E
	v_mul_f32_e32 v65, v14, v65                                // 00000000A020: 0A82830E
	v_mul_f32_e32 v66, v14, v66                                // 00000000A024: 0A84850E
	v_mul_f32_e32 v67, v14, v67                                // 00000000A028: 0A86870E
	v_mul_f32_dpp v64, v50, v64 row_newbcast:0 row_mask:0xf bank_mask:0xf// 00000000A02C: 0A8080FA FF015032
	v_mul_f32_dpp v65, v50, v65 row_newbcast:1 row_mask:0xf bank_mask:0xf// 00000000A034: 0A8282FA FF015132
	v_mul_f32_dpp v66, v50, v66 row_newbcast:2 row_mask:0xf bank_mask:0xf// 00000000A03C: 0A8484FA FF015232
	v_mul_f32_dpp v67, v50, v67 row_newbcast:3 row_mask:0xf bank_mask:0xf// 00000000A044: 0A8686FA FF015332
	v_cvt_f32_i32_e32 v68, v68                                 // 00000000A04C: 7E880B44
	v_cvt_f32_i32_e32 v69, v69                                 // 00000000A050: 7E8A0B45
	v_cvt_f32_i32_e32 v70, v70                                 // 00000000A054: 7E8C0B46
	v_cvt_f32_i32_e32 v71, v71                                 // 00000000A058: 7E8E0B47
	v_mul_f32_e32 v68, v15, v68                                // 00000000A05C: 0A88890F
	v_mul_f32_e32 v69, v15, v69                                // 00000000A060: 0A8A8B0F
	v_mul_f32_e32 v70, v15, v70                                // 00000000A064: 0A8C8D0F
	v_mul_f32_e32 v71, v15, v71                                // 00000000A068: 0A8E8F0F
	v_mul_f32_dpp v68, v50, v68 row_newbcast:0 row_mask:0xf bank_mask:0xf// 00000000A06C: 0A8888FA FF015032
	v_mul_f32_dpp v69, v50, v69 row_newbcast:1 row_mask:0xf bank_mask:0xf// 00000000A074: 0A8A8AFA FF015132
	v_mul_f32_dpp v70, v50, v70 row_newbcast:2 row_mask:0xf bank_mask:0xf// 00000000A07C: 0A8C8CFA FF015232
	v_mul_f32_dpp v71, v50, v71 row_newbcast:3 row_mask:0xf bank_mask:0xf// 00000000A084: 0A8E8EFA FF015332
	v_cvt_f32_i32_e32 v72, v72                                 // 00000000A08C: 7E900B48
	v_cvt_f32_i32_e32 v73, v73                                 // 00000000A090: 7E920B49
	v_cvt_f32_i32_e32 v74, v74                                 // 00000000A094: 7E940B4A
	v_cvt_f32_i32_e32 v75, v75                                 // 00000000A098: 7E960B4B
	v_mul_f32_e32 v72, v14, v72                                // 00000000A09C: 0A90910E
	v_mul_f32_e32 v73, v14, v73                                // 00000000A0A0: 0A92930E
	v_mul_f32_e32 v74, v14, v74                                // 00000000A0A4: 0A94950E
	v_mul_f32_e32 v75, v14, v75                                // 00000000A0A8: 0A96970E
	v_mul_f32_dpp v72, v50, v72 row_newbcast:4 row_mask:0xf bank_mask:0xf// 00000000A0AC: 0A9090FA FF015432
	v_mul_f32_dpp v73, v50, v73 row_newbcast:5 row_mask:0xf bank_mask:0xf// 00000000A0B4: 0A9292FA FF015532
	v_mul_f32_dpp v74, v50, v74 row_newbcast:6 row_mask:0xf bank_mask:0xf// 00000000A0BC: 0A9494FA FF015632
	v_mul_f32_dpp v75, v50, v75 row_newbcast:7 row_mask:0xf bank_mask:0xf// 00000000A0C4: 0A9696FA FF015732
	v_cvt_f32_i32_e32 v76, v76                                 // 00000000A0CC: 7E980B4C
	v_cvt_f32_i32_e32 v77, v77                                 // 00000000A0D0: 7E9A0B4D
	v_cvt_f32_i32_e32 v78, v78                                 // 00000000A0D4: 7E9C0B4E
	v_cvt_f32_i32_e32 v79, v79                                 // 00000000A0D8: 7E9E0B4F
	v_mul_f32_e32 v76, v15, v76                                // 00000000A0DC: 0A98990F
	v_mul_f32_e32 v77, v15, v77                                // 00000000A0E0: 0A9A9B0F
	v_mul_f32_e32 v78, v15, v78                                // 00000000A0E4: 0A9C9D0F
	v_mul_f32_e32 v79, v15, v79                                // 00000000A0E8: 0A9E9F0F
	v_mul_f32_dpp v76, v50, v76 row_newbcast:4 row_mask:0xf bank_mask:0xf// 00000000A0EC: 0A9898FA FF015432
	v_mul_f32_dpp v77, v50, v77 row_newbcast:5 row_mask:0xf bank_mask:0xf// 00000000A0F4: 0A9A9AFA FF015532
	v_mul_f32_dpp v78, v50, v78 row_newbcast:6 row_mask:0xf bank_mask:0xf// 00000000A0FC: 0A9C9CFA FF015632
	v_mul_f32_dpp v79, v50, v79 row_newbcast:7 row_mask:0xf bank_mask:0xf// 00000000A104: 0A9E9EFA FF015732
	v_cvt_f32_i32_e32 v80, v80                                 // 00000000A10C: 7EA00B50
	v_cvt_f32_i32_e32 v81, v81                                 // 00000000A110: 7EA20B51
	v_cvt_f32_i32_e32 v82, v82                                 // 00000000A114: 7EA40B52
	v_cvt_f32_i32_e32 v83, v83                                 // 00000000A118: 7EA60B53
	v_mul_f32_e32 v80, v14, v80                                // 00000000A11C: 0AA0A10E
	v_mul_f32_e32 v81, v14, v81                                // 00000000A120: 0AA2A30E
	v_mul_f32_e32 v82, v14, v82                                // 00000000A124: 0AA4A50E
	v_mul_f32_e32 v83, v14, v83                                // 00000000A128: 0AA6A70E
	v_mul_f32_dpp v80, v50, v80 row_newbcast:8 row_mask:0xf bank_mask:0xf// 00000000A12C: 0AA0A0FA FF015832
	v_mul_f32_dpp v81, v50, v81 row_newbcast:9 row_mask:0xf bank_mask:0xf// 00000000A134: 0AA2A2FA FF015932
	v_mul_f32_dpp v82, v50, v82 row_newbcast:10 row_mask:0xf bank_mask:0xf// 00000000A13C: 0AA4A4FA FF015A32
	v_mul_f32_dpp v83, v50, v83 row_newbcast:11 row_mask:0xf bank_mask:0xf// 00000000A144: 0AA6A6FA FF015B32
	v_cvt_f32_i32_e32 v84, v84                                 // 00000000A14C: 7EA80B54
	v_cvt_f32_i32_e32 v85, v85                                 // 00000000A150: 7EAA0B55
	v_cvt_f32_i32_e32 v86, v86                                 // 00000000A154: 7EAC0B56
	v_cvt_f32_i32_e32 v87, v87                                 // 00000000A158: 7EAE0B57
	v_mul_f32_e32 v84, v15, v84                                // 00000000A15C: 0AA8A90F
	v_mul_f32_e32 v85, v15, v85                                // 00000000A160: 0AAAAB0F
	v_mul_f32_e32 v86, v15, v86                                // 00000000A164: 0AACAD0F
	v_mul_f32_e32 v87, v15, v87                                // 00000000A168: 0AAEAF0F
	v_mul_f32_dpp v84, v50, v84 row_newbcast:8 row_mask:0xf bank_mask:0xf// 00000000A16C: 0AA8A8FA FF015832
	v_mul_f32_dpp v85, v50, v85 row_newbcast:9 row_mask:0xf bank_mask:0xf// 00000000A174: 0AAAAAFA FF015932
	v_mul_f32_dpp v86, v50, v86 row_newbcast:10 row_mask:0xf bank_mask:0xf// 00000000A17C: 0AACACFA FF015A32
	v_mul_f32_dpp v87, v50, v87 row_newbcast:11 row_mask:0xf bank_mask:0xf// 00000000A184: 0AAEAEFA FF015B32
	v_cvt_f32_i32_e32 v88, v88                                 // 00000000A18C: 7EB00B58
	v_cvt_f32_i32_e32 v89, v89                                 // 00000000A190: 7EB20B59
	v_cvt_f32_i32_e32 v90, v90                                 // 00000000A194: 7EB40B5A
	v_cvt_f32_i32_e32 v91, v91                                 // 00000000A198: 7EB60B5B
	v_mul_f32_e32 v88, v14, v88                                // 00000000A19C: 0AB0B10E
	v_mul_f32_e32 v89, v14, v89                                // 00000000A1A0: 0AB2B30E
	v_mul_f32_e32 v90, v14, v90                                // 00000000A1A4: 0AB4B50E
	v_mul_f32_e32 v91, v14, v91                                // 00000000A1A8: 0AB6B70E
	v_mul_f32_dpp v88, v50, v88 row_newbcast:12 row_mask:0xf bank_mask:0xf// 00000000A1AC: 0AB0B0FA FF015C32
	v_mul_f32_dpp v89, v50, v89 row_newbcast:13 row_mask:0xf bank_mask:0xf// 00000000A1B4: 0AB2B2FA FF015D32
	v_mul_f32_dpp v90, v50, v90 row_newbcast:14 row_mask:0xf bank_mask:0xf// 00000000A1BC: 0AB4B4FA FF015E32
	v_mul_f32_dpp v91, v50, v91 row_newbcast:15 row_mask:0xf bank_mask:0xf// 00000000A1C4: 0AB6B6FA FF015F32
	v_cvt_f32_i32_e32 v92, v92                                 // 00000000A1CC: 7EB80B5C
	v_cvt_f32_i32_e32 v93, v93                                 // 00000000A1D0: 7EBA0B5D
	v_cvt_f32_i32_e32 v94, v94                                 // 00000000A1D4: 7EBC0B5E
	v_cvt_f32_i32_e32 v95, v95                                 // 00000000A1D8: 7EBE0B5F
	v_mul_f32_e32 v92, v15, v92                                // 00000000A1DC: 0AB8B90F
	v_mul_f32_e32 v93, v15, v93                                // 00000000A1E0: 0ABABB0F
	v_mul_f32_e32 v94, v15, v94                                // 00000000A1E4: 0ABCBD0F
	v_mul_f32_e32 v95, v15, v95                                // 00000000A1E8: 0ABEBF0F
	v_mul_f32_dpp v92, v50, v92 row_newbcast:12 row_mask:0xf bank_mask:0xf// 00000000A1EC: 0AB8B8FA FF015C32
	v_mul_f32_dpp v93, v50, v93 row_newbcast:13 row_mask:0xf bank_mask:0xf// 00000000A1F4: 0ABABAFA FF015D32
	v_mul_f32_dpp v94, v50, v94 row_newbcast:14 row_mask:0xf bank_mask:0xf// 00000000A1FC: 0ABCBCFA FF015E32
	v_mul_f32_dpp v95, v50, v95 row_newbcast:15 row_mask:0xf bank_mask:0xf// 00000000A204: 0ABEBEFA FF015F32
	v_cvt_f32_i32_e32 v96, v96                                 // 00000000A20C: 7EC00B60
	v_cvt_f32_i32_e32 v97, v97                                 // 00000000A210: 7EC20B61
	v_cvt_f32_i32_e32 v98, v98                                 // 00000000A214: 7EC40B62
	v_cvt_f32_i32_e32 v99, v99                                 // 00000000A218: 7EC60B63
	v_mul_f32_e32 v96, v14, v96                                // 00000000A21C: 0AC0C10E
	v_mul_f32_e32 v97, v14, v97                                // 00000000A220: 0AC2C30E
	v_mul_f32_e32 v98, v14, v98                                // 00000000A224: 0AC4C50E
	v_mul_f32_e32 v99, v14, v99                                // 00000000A228: 0AC6C70E
	v_mul_f32_dpp v96, v51, v96 row_newbcast:0 row_mask:0xf bank_mask:0xf// 00000000A22C: 0AC0C0FA FF015033
	v_mul_f32_dpp v97, v51, v97 row_newbcast:1 row_mask:0xf bank_mask:0xf// 00000000A234: 0AC2C2FA FF015133
	v_mul_f32_dpp v98, v51, v98 row_newbcast:2 row_mask:0xf bank_mask:0xf// 00000000A23C: 0AC4C4FA FF015233
	v_mul_f32_dpp v99, v51, v99 row_newbcast:3 row_mask:0xf bank_mask:0xf// 00000000A244: 0AC6C6FA FF015333
	v_cvt_f32_i32_e32 v100, v100                               // 00000000A24C: 7EC80B64
	v_cvt_f32_i32_e32 v101, v101                               // 00000000A250: 7ECA0B65
	v_cvt_f32_i32_e32 v102, v102                               // 00000000A254: 7ECC0B66
	v_cvt_f32_i32_e32 v103, v103                               // 00000000A258: 7ECE0B67
	v_mul_f32_e32 v100, v15, v100                              // 00000000A25C: 0AC8C90F
	v_mul_f32_e32 v101, v15, v101                              // 00000000A260: 0ACACB0F
	v_mul_f32_e32 v102, v15, v102                              // 00000000A264: 0ACCCD0F
	v_mul_f32_e32 v103, v15, v103                              // 00000000A268: 0ACECF0F
	v_mul_f32_dpp v100, v51, v100 row_newbcast:0 row_mask:0xf bank_mask:0xf// 00000000A26C: 0AC8C8FA FF015033
	v_mul_f32_dpp v101, v51, v101 row_newbcast:1 row_mask:0xf bank_mask:0xf// 00000000A274: 0ACACAFA FF015133
	v_mul_f32_dpp v102, v51, v102 row_newbcast:2 row_mask:0xf bank_mask:0xf// 00000000A27C: 0ACCCCFA FF015233
	v_mul_f32_dpp v103, v51, v103 row_newbcast:3 row_mask:0xf bank_mask:0xf// 00000000A284: 0ACECEFA FF015333
	v_cvt_f32_i32_e32 v104, v104                               // 00000000A28C: 7ED00B68
	v_cvt_f32_i32_e32 v105, v105                               // 00000000A290: 7ED20B69
	v_cvt_f32_i32_e32 v106, v106                               // 00000000A294: 7ED40B6A
	v_cvt_f32_i32_e32 v107, v107                               // 00000000A298: 7ED60B6B
	v_mul_f32_e32 v104, v14, v104                              // 00000000A29C: 0AD0D10E
	v_mul_f32_e32 v105, v14, v105                              // 00000000A2A0: 0AD2D30E
	v_mul_f32_e32 v106, v14, v106                              // 00000000A2A4: 0AD4D50E
	v_mul_f32_e32 v107, v14, v107                              // 00000000A2A8: 0AD6D70E
	v_mul_f32_dpp v104, v51, v104 row_newbcast:4 row_mask:0xf bank_mask:0xf// 00000000A2AC: 0AD0D0FA FF015433
	v_mul_f32_dpp v105, v51, v105 row_newbcast:5 row_mask:0xf bank_mask:0xf// 00000000A2B4: 0AD2D2FA FF015533
	v_mul_f32_dpp v106, v51, v106 row_newbcast:6 row_mask:0xf bank_mask:0xf// 00000000A2BC: 0AD4D4FA FF015633
	v_mul_f32_dpp v107, v51, v107 row_newbcast:7 row_mask:0xf bank_mask:0xf// 00000000A2C4: 0AD6D6FA FF015733
	v_cvt_f32_i32_e32 v108, v108                               // 00000000A2CC: 7ED80B6C
	v_cvt_f32_i32_e32 v109, v109                               // 00000000A2D0: 7EDA0B6D
	v_cvt_f32_i32_e32 v110, v110                               // 00000000A2D4: 7EDC0B6E
	v_cvt_f32_i32_e32 v111, v111                               // 00000000A2D8: 7EDE0B6F
	v_mul_f32_e32 v108, v15, v108                              // 00000000A2DC: 0AD8D90F
	v_mul_f32_e32 v109, v15, v109                              // 00000000A2E0: 0ADADB0F
	v_mul_f32_e32 v110, v15, v110                              // 00000000A2E4: 0ADCDD0F
	v_mul_f32_e32 v111, v15, v111                              // 00000000A2E8: 0ADEDF0F
	v_mul_f32_dpp v108, v51, v108 row_newbcast:4 row_mask:0xf bank_mask:0xf// 00000000A2EC: 0AD8D8FA FF015433
	v_mul_f32_dpp v109, v51, v109 row_newbcast:5 row_mask:0xf bank_mask:0xf// 00000000A2F4: 0ADADAFA FF015533
	v_mul_f32_dpp v110, v51, v110 row_newbcast:6 row_mask:0xf bank_mask:0xf// 00000000A2FC: 0ADCDCFA FF015633
	v_mul_f32_dpp v111, v51, v111 row_newbcast:7 row_mask:0xf bank_mask:0xf// 00000000A304: 0ADEDEFA FF015733
	v_cvt_f32_i32_e32 v112, v112                               // 00000000A30C: 7EE00B70
	v_cvt_f32_i32_e32 v113, v113                               // 00000000A310: 7EE20B71
	v_cvt_f32_i32_e32 v114, v114                               // 00000000A314: 7EE40B72
	v_cvt_f32_i32_e32 v115, v115                               // 00000000A318: 7EE60B73
	v_mul_f32_e32 v112, v14, v112                              // 00000000A31C: 0AE0E10E
	v_mul_f32_e32 v113, v14, v113                              // 00000000A320: 0AE2E30E
	v_mul_f32_e32 v114, v14, v114                              // 00000000A324: 0AE4E50E
	v_mul_f32_e32 v115, v14, v115                              // 00000000A328: 0AE6E70E
	v_mul_f32_dpp v112, v51, v112 row_newbcast:8 row_mask:0xf bank_mask:0xf// 00000000A32C: 0AE0E0FA FF015833
	v_mul_f32_dpp v113, v51, v113 row_newbcast:9 row_mask:0xf bank_mask:0xf// 00000000A334: 0AE2E2FA FF015933
	v_mul_f32_dpp v114, v51, v114 row_newbcast:10 row_mask:0xf bank_mask:0xf// 00000000A33C: 0AE4E4FA FF015A33
	v_mul_f32_dpp v115, v51, v115 row_newbcast:11 row_mask:0xf bank_mask:0xf// 00000000A344: 0AE6E6FA FF015B33
	v_cvt_f32_i32_e32 v116, v116                               // 00000000A34C: 7EE80B74
	v_cvt_f32_i32_e32 v117, v117                               // 00000000A350: 7EEA0B75
	v_cvt_f32_i32_e32 v118, v118                               // 00000000A354: 7EEC0B76
	v_cvt_f32_i32_e32 v119, v119                               // 00000000A358: 7EEE0B77
	v_mul_f32_e32 v116, v15, v116                              // 00000000A35C: 0AE8E90F
	v_mul_f32_e32 v117, v15, v117                              // 00000000A360: 0AEAEB0F
	v_mul_f32_e32 v118, v15, v118                              // 00000000A364: 0AECED0F
	v_mul_f32_e32 v119, v15, v119                              // 00000000A368: 0AEEEF0F
	v_mul_f32_dpp v116, v51, v116 row_newbcast:8 row_mask:0xf bank_mask:0xf// 00000000A36C: 0AE8E8FA FF015833
	v_mul_f32_dpp v117, v51, v117 row_newbcast:9 row_mask:0xf bank_mask:0xf// 00000000A374: 0AEAEAFA FF015933
	v_mul_f32_dpp v118, v51, v118 row_newbcast:10 row_mask:0xf bank_mask:0xf// 00000000A37C: 0AECECFA FF015A33
	v_mul_f32_dpp v119, v51, v119 row_newbcast:11 row_mask:0xf bank_mask:0xf// 00000000A384: 0AEEEEFA FF015B33
	v_cvt_f32_i32_e32 v120, v120                               // 00000000A38C: 7EF00B78
	v_cvt_f32_i32_e32 v121, v121                               // 00000000A390: 7EF20B79
	v_cvt_f32_i32_e32 v122, v122                               // 00000000A394: 7EF40B7A
	v_cvt_f32_i32_e32 v123, v123                               // 00000000A398: 7EF60B7B
	v_mul_f32_e32 v120, v14, v120                              // 00000000A39C: 0AF0F10E
	v_mul_f32_e32 v121, v14, v121                              // 00000000A3A0: 0AF2F30E
	v_mul_f32_e32 v122, v14, v122                              // 00000000A3A4: 0AF4F50E
	v_mul_f32_e32 v123, v14, v123                              // 00000000A3A8: 0AF6F70E
	v_mul_f32_dpp v120, v51, v120 row_newbcast:12 row_mask:0xf bank_mask:0xf// 00000000A3AC: 0AF0F0FA FF015C33
	v_mul_f32_dpp v121, v51, v121 row_newbcast:13 row_mask:0xf bank_mask:0xf// 00000000A3B4: 0AF2F2FA FF015D33
	v_mul_f32_dpp v122, v51, v122 row_newbcast:14 row_mask:0xf bank_mask:0xf// 00000000A3BC: 0AF4F4FA FF015E33
	v_mul_f32_dpp v123, v51, v123 row_newbcast:15 row_mask:0xf bank_mask:0xf// 00000000A3C4: 0AF6F6FA FF015F33
	v_cvt_f32_i32_e32 v124, v124                               // 00000000A3CC: 7EF80B7C
	v_cvt_f32_i32_e32 v125, v125                               // 00000000A3D0: 7EFA0B7D
	v_cvt_f32_i32_e32 v126, v126                               // 00000000A3D4: 7EFC0B7E
	v_cvt_f32_i32_e32 v127, v127                               // 00000000A3D8: 7EFE0B7F
	v_mul_f32_e32 v124, v15, v124                              // 00000000A3DC: 0AF8F90F
	v_mul_f32_e32 v125, v15, v125                              // 00000000A3E0: 0AFAFB0F
	v_mul_f32_e32 v126, v15, v126                              // 00000000A3E4: 0AFCFD0F
	v_mul_f32_e32 v127, v15, v127                              // 00000000A3E8: 0AFEFF0F
	v_mul_f32_dpp v124, v51, v124 row_newbcast:12 row_mask:0xf bank_mask:0xf// 00000000A3EC: 0AF8F8FA FF015C33
	v_mul_f32_dpp v125, v51, v125 row_newbcast:13 row_mask:0xf bank_mask:0xf// 00000000A3F4: 0AFAFAFA FF015D33
	v_mul_f32_dpp v126, v51, v126 row_newbcast:14 row_mask:0xf bank_mask:0xf// 00000000A3FC: 0AFCFCFA FF015E33
	v_mul_f32_dpp v127, v51, v127 row_newbcast:15 row_mask:0xf bank_mask:0xf// 00000000A404: 0AFEFEFA FF015F33
	s_waitcnt vmcnt(28)                                        // 00000000A40C: BF8C4F7C
	buffer_load_dwordx4 a[0:3], v42, s[12:15], 0 offen         // 00000000A410: E05C1000 8083002A
	v_mul_f32_e64 v52, -v128, s6                               // 00000000A418: D1050034 20000D80
	v_mul_f32_e64 v53, -v129, s6                               // 00000000A420: D1050035 20000D81
	v_mul_f32_e64 v54, -v130, s6                               // 00000000A428: D1050036 20000D82
	v_mul_f32_e64 v55, -v131, s6                               // 00000000A430: D1050037 20000D83
	v_exp_f32_e32 v52, v52                                     // 00000000A438: 7E684134
	v_exp_f32_e32 v53, v53                                     // 00000000A43C: 7E6A4135
	v_exp_f32_e32 v54, v54                                     // 00000000A440: 7E6C4136
	v_exp_f32_e32 v55, v55                                     // 00000000A444: 7E6E4137
	buffer_load_dwordx4 a[4:7], v43, s[12:15], 0 offen         // 00000000A448: E05C1000 8083042B
	v_add_f32_e64 v52, v52, 1.0                                // 00000000A450: D1010034 0001E534
	v_add_f32_e64 v53, v53, 1.0                                // 00000000A458: D1010035 0001E535
	v_add_f32_e64 v54, v54, 1.0                                // 00000000A460: D1010036 0001E536
	v_add_f32_e64 v55, v55, 1.0                                // 00000000A468: D1010037 0001E537
	v_rcp_f32_e32 v52, v52                                     // 00000000A470: 7E684534
	v_rcp_f32_e32 v53, v53                                     // 00000000A474: 7E6A4535
	v_rcp_f32_e32 v54, v54                                     // 00000000A478: 7E6C4536
	v_rcp_f32_e32 v55, v55                                     // 00000000A47C: 7E6E4537
	v_mul_f32_e32 v128, v128, v52                              // 00000000A480: 0B006980
	v_mul_f32_e32 v129, v129, v53                              // 00000000A484: 0B026B81
	v_mul_f32_e32 v130, v130, v54                              // 00000000A488: 0B046D82
	v_mul_f32_e32 v131, v131, v55                              // 00000000A48C: 0B066F83
	v_mul_f32_e32 v128, v128, v64                              // 00000000A490: 0B008180
	v_mul_f32_e32 v129, v129, v65                              // 00000000A494: 0B028381
	v_mul_f32_e32 v130, v130, v66                              // 00000000A498: 0B048582
	v_mul_f32_e32 v131, v131, v67                              // 00000000A49C: 0B068783
	buffer_load_dwordx4 a[8:11], v44, s[12:15], 0 offen        // 00000000A4A0: E05C1000 8083082C
	v_mul_f32_e64 v52, -v132, s6                               // 00000000A4A8: D1050034 20000D84
	v_mul_f32_e64 v53, -v133, s6                               // 00000000A4B0: D1050035 20000D85
	v_mul_f32_e64 v54, -v134, s6                               // 00000000A4B8: D1050036 20000D86
	v_mul_f32_e64 v55, -v135, s6                               // 00000000A4C0: D1050037 20000D87
	v_exp_f32_e32 v52, v52                                     // 00000000A4C8: 7E684134
	v_exp_f32_e32 v53, v53                                     // 00000000A4CC: 7E6A4135
	v_exp_f32_e32 v54, v54                                     // 00000000A4D0: 7E6C4136
	v_exp_f32_e32 v55, v55                                     // 00000000A4D4: 7E6E4137
	buffer_load_dwordx4 a[12:15], v45, s[12:15], 0 offen       // 00000000A4D8: E05C1000 80830C2D
	s_add_u32 s12, s78, s12                                    // 00000000A4E0: 800C0C4E
	s_addc_u32 s13, 0, s13                                     // 00000000A4E4: 820D0D80
	v_add_f32_e64 v52, v52, 1.0                                // 00000000A4E8: D1010034 0001E534
	v_add_f32_e64 v53, v53, 1.0                                // 00000000A4F0: D1010035 0001E535
	v_add_f32_e64 v54, v54, 1.0                                // 00000000A4F8: D1010036 0001E536
	v_add_f32_e64 v55, v55, 1.0                                // 00000000A500: D1010037 0001E537
	v_rcp_f32_e32 v52, v52                                     // 00000000A508: 7E684534
	v_rcp_f32_e32 v53, v53                                     // 00000000A50C: 7E6A4535
	v_rcp_f32_e32 v54, v54                                     // 00000000A510: 7E6C4536
	v_rcp_f32_e32 v55, v55                                     // 00000000A514: 7E6E4537
	v_mul_f32_e32 v132, v132, v52                              // 00000000A518: 0B086984
	v_mul_f32_e32 v133, v133, v53                              // 00000000A51C: 0B0A6B85
	v_mul_f32_e32 v134, v134, v54                              // 00000000A520: 0B0C6D86
	v_mul_f32_e32 v135, v135, v55                              // 00000000A524: 0B0E6F87
	v_mul_f32_e32 v132, v132, v68                              // 00000000A528: 0B088984
	v_mul_f32_e32 v133, v133, v69                              // 00000000A52C: 0B0A8B85
	v_mul_f32_e32 v134, v134, v70                              // 00000000A530: 0B0C8D86
	v_mul_f32_e32 v135, v135, v71                              // 00000000A534: 0B0E8F87
	s_waitcnt vmcnt(28)                                        // 00000000A538: BF8C4F7C
	buffer_load_dwordx4 a[16:19], v42, s[12:15], 0 offen       // 00000000A53C: E05C1000 8083102A
	v_mul_f32_e64 v52, -v136, s6                               // 00000000A544: D1050034 20000D88
	v_mul_f32_e64 v53, -v137, s6                               // 00000000A54C: D1050035 20000D89
	v_mul_f32_e64 v54, -v138, s6                               // 00000000A554: D1050036 20000D8A
	v_mul_f32_e64 v55, -v139, s6                               // 00000000A55C: D1050037 20000D8B
	v_exp_f32_e32 v52, v52                                     // 00000000A564: 7E684134
	v_exp_f32_e32 v53, v53                                     // 00000000A568: 7E6A4135
	v_exp_f32_e32 v54, v54                                     // 00000000A56C: 7E6C4136
	v_exp_f32_e32 v55, v55                                     // 00000000A570: 7E6E4137
	buffer_load_dwordx4 a[20:23], v43, s[12:15], 0 offen       // 00000000A574: E05C1000 8083142B
	v_add_f32_e64 v52, v52, 1.0                                // 00000000A57C: D1010034 0001E534
	v_add_f32_e64 v53, v53, 1.0                                // 00000000A584: D1010035 0001E535
	v_add_f32_e64 v54, v54, 1.0                                // 00000000A58C: D1010036 0001E536
	v_add_f32_e64 v55, v55, 1.0                                // 00000000A594: D1010037 0001E537
	v_rcp_f32_e32 v52, v52                                     // 00000000A59C: 7E684534
	v_rcp_f32_e32 v53, v53                                     // 00000000A5A0: 7E6A4535
	v_rcp_f32_e32 v54, v54                                     // 00000000A5A4: 7E6C4536
	v_rcp_f32_e32 v55, v55                                     // 00000000A5A8: 7E6E4537
	v_mul_f32_e32 v136, v136, v52                              // 00000000A5AC: 0B106988
	v_mul_f32_e32 v137, v137, v53                              // 00000000A5B0: 0B126B89
	v_mul_f32_e32 v138, v138, v54                              // 00000000A5B4: 0B146D8A
	v_mul_f32_e32 v139, v139, v55                              // 00000000A5B8: 0B166F8B
	v_mul_f32_e32 v136, v136, v72                              // 00000000A5BC: 0B109188
	v_mul_f32_e32 v137, v137, v73                              // 00000000A5C0: 0B129389
	v_mul_f32_e32 v138, v138, v74                              // 00000000A5C4: 0B14958A
	v_mul_f32_e32 v139, v139, v75                              // 00000000A5C8: 0B16978B
	buffer_load_dwordx4 a[24:27], v44, s[12:15], 0 offen       // 00000000A5CC: E05C1000 8083182C
	v_mul_f32_e64 v52, -v140, s6                               // 00000000A5D4: D1050034 20000D8C
	v_mul_f32_e64 v53, -v141, s6                               // 00000000A5DC: D1050035 20000D8D
	v_mul_f32_e64 v54, -v142, s6                               // 00000000A5E4: D1050036 20000D8E
	v_mul_f32_e64 v55, -v143, s6                               // 00000000A5EC: D1050037 20000D8F
	v_exp_f32_e32 v52, v52                                     // 00000000A5F4: 7E684134
	v_exp_f32_e32 v53, v53                                     // 00000000A5F8: 7E6A4135
	v_exp_f32_e32 v54, v54                                     // 00000000A5FC: 7E6C4136
	v_exp_f32_e32 v55, v55                                     // 00000000A600: 7E6E4137
	buffer_load_dwordx4 a[28:31], v45, s[12:15], 0 offen       // 00000000A604: E05C1000 80831C2D
	s_add_u32 s12, s78, s12                                    // 00000000A60C: 800C0C4E
	s_addc_u32 s13, 0, s13                                     // 00000000A610: 820D0D80
	v_add_f32_e64 v52, v52, 1.0                                // 00000000A614: D1010034 0001E534
	v_add_f32_e64 v53, v53, 1.0                                // 00000000A61C: D1010035 0001E535
	v_add_f32_e64 v54, v54, 1.0                                // 00000000A624: D1010036 0001E536
	v_add_f32_e64 v55, v55, 1.0                                // 00000000A62C: D1010037 0001E537
	v_rcp_f32_e32 v52, v52                                     // 00000000A634: 7E684534
	v_rcp_f32_e32 v53, v53                                     // 00000000A638: 7E6A4535
	v_rcp_f32_e32 v54, v54                                     // 00000000A63C: 7E6C4536
	v_rcp_f32_e32 v55, v55                                     // 00000000A640: 7E6E4537
	v_mul_f32_e32 v140, v140, v52                              // 00000000A644: 0B18698C
	v_mul_f32_e32 v141, v141, v53                              // 00000000A648: 0B1A6B8D
	v_mul_f32_e32 v142, v142, v54                              // 00000000A64C: 0B1C6D8E
	v_mul_f32_e32 v143, v143, v55                              // 00000000A650: 0B1E6F8F
	v_mul_f32_e32 v140, v140, v76                              // 00000000A654: 0B18998C
	v_mul_f32_e32 v141, v141, v77                              // 00000000A658: 0B1A9B8D
	v_mul_f32_e32 v142, v142, v78                              // 00000000A65C: 0B1C9D8E
	v_mul_f32_e32 v143, v143, v79                              // 00000000A660: 0B1E9F8F
	s_waitcnt vmcnt(28)                                        // 00000000A664: BF8C4F7C
	buffer_load_dwordx4 a[32:35], v42, s[12:15], 0 offen       // 00000000A668: E05C1000 8083202A
	v_mul_f32_e64 v52, -v144, s6                               // 00000000A670: D1050034 20000D90
	v_mul_f32_e64 v53, -v145, s6                               // 00000000A678: D1050035 20000D91
	v_mul_f32_e64 v54, -v146, s6                               // 00000000A680: D1050036 20000D92
	v_mul_f32_e64 v55, -v147, s6                               // 00000000A688: D1050037 20000D93
	v_exp_f32_e32 v52, v52                                     // 00000000A690: 7E684134
	v_exp_f32_e32 v53, v53                                     // 00000000A694: 7E6A4135
	v_exp_f32_e32 v54, v54                                     // 00000000A698: 7E6C4136
	v_exp_f32_e32 v55, v55                                     // 00000000A69C: 7E6E4137
	buffer_load_dwordx4 a[36:39], v43, s[12:15], 0 offen       // 00000000A6A0: E05C1000 8083242B
	v_add_f32_e64 v52, v52, 1.0                                // 00000000A6A8: D1010034 0001E534
	v_add_f32_e64 v53, v53, 1.0                                // 00000000A6B0: D1010035 0001E535
	v_add_f32_e64 v54, v54, 1.0                                // 00000000A6B8: D1010036 0001E536
	v_add_f32_e64 v55, v55, 1.0                                // 00000000A6C0: D1010037 0001E537
	v_rcp_f32_e32 v52, v52                                     // 00000000A6C8: 7E684534
	v_rcp_f32_e32 v53, v53                                     // 00000000A6CC: 7E6A4535
	v_rcp_f32_e32 v54, v54                                     // 00000000A6D0: 7E6C4536
	v_rcp_f32_e32 v55, v55                                     // 00000000A6D4: 7E6E4537
	v_mul_f32_e32 v144, v144, v52                              // 00000000A6D8: 0B206990
	v_mul_f32_e32 v145, v145, v53                              // 00000000A6DC: 0B226B91
	v_mul_f32_e32 v146, v146, v54                              // 00000000A6E0: 0B246D92
	v_mul_f32_e32 v147, v147, v55                              // 00000000A6E4: 0B266F93
	v_mul_f32_e32 v144, v144, v80                              // 00000000A6E8: 0B20A190
	v_mul_f32_e32 v145, v145, v81                              // 00000000A6EC: 0B22A391
	v_mul_f32_e32 v146, v146, v82                              // 00000000A6F0: 0B24A592
	v_mul_f32_e32 v147, v147, v83                              // 00000000A6F4: 0B26A793
	buffer_load_dwordx4 a[40:43], v44, s[12:15], 0 offen       // 00000000A6F8: E05C1000 8083282C
	v_mul_f32_e64 v52, -v148, s6                               // 00000000A700: D1050034 20000D94
	v_mul_f32_e64 v53, -v149, s6                               // 00000000A708: D1050035 20000D95
	v_mul_f32_e64 v54, -v150, s6                               // 00000000A710: D1050036 20000D96
	v_mul_f32_e64 v55, -v151, s6                               // 00000000A718: D1050037 20000D97
	v_exp_f32_e32 v52, v52                                     // 00000000A720: 7E684134
	v_exp_f32_e32 v53, v53                                     // 00000000A724: 7E6A4135
	v_exp_f32_e32 v54, v54                                     // 00000000A728: 7E6C4136
	v_exp_f32_e32 v55, v55                                     // 00000000A72C: 7E6E4137
	buffer_load_dwordx4 a[44:47], v45, s[12:15], 0 offen       // 00000000A730: E05C1000 80832C2D
	s_add_u32 s12, s78, s12                                    // 00000000A738: 800C0C4E
	s_addc_u32 s13, 0, s13                                     // 00000000A73C: 820D0D80
	v_add_f32_e64 v52, v52, 1.0                                // 00000000A740: D1010034 0001E534
	v_add_f32_e64 v53, v53, 1.0                                // 00000000A748: D1010035 0001E535
	v_add_f32_e64 v54, v54, 1.0                                // 00000000A750: D1010036 0001E536
	v_add_f32_e64 v55, v55, 1.0                                // 00000000A758: D1010037 0001E537
	v_rcp_f32_e32 v52, v52                                     // 00000000A760: 7E684534
	v_rcp_f32_e32 v53, v53                                     // 00000000A764: 7E6A4535
	v_rcp_f32_e32 v54, v54                                     // 00000000A768: 7E6C4536
	v_rcp_f32_e32 v55, v55                                     // 00000000A76C: 7E6E4537
	v_mul_f32_e32 v148, v148, v52                              // 00000000A770: 0B286994
	v_mul_f32_e32 v149, v149, v53                              // 00000000A774: 0B2A6B95
	v_mul_f32_e32 v150, v150, v54                              // 00000000A778: 0B2C6D96
	v_mul_f32_e32 v151, v151, v55                              // 00000000A77C: 0B2E6F97
	v_mul_f32_e32 v148, v148, v84                              // 00000000A780: 0B28A994
	v_mul_f32_e32 v149, v149, v85                              // 00000000A784: 0B2AAB95
	v_mul_f32_e32 v150, v150, v86                              // 00000000A788: 0B2CAD96
	v_mul_f32_e32 v151, v151, v87                              // 00000000A78C: 0B2EAF97
	s_waitcnt vmcnt(28)                                        // 00000000A790: BF8C4F7C
	buffer_load_dwordx4 a[48:51], v42, s[12:15], 0 offen       // 00000000A794: E05C1000 8083302A
	v_mul_f32_e64 v52, -v152, s6                               // 00000000A79C: D1050034 20000D98
	v_mul_f32_e64 v53, -v153, s6                               // 00000000A7A4: D1050035 20000D99
	v_mul_f32_e64 v54, -v154, s6                               // 00000000A7AC: D1050036 20000D9A
	v_mul_f32_e64 v55, -v155, s6                               // 00000000A7B4: D1050037 20000D9B
	v_exp_f32_e32 v52, v52                                     // 00000000A7BC: 7E684134
	v_exp_f32_e32 v53, v53                                     // 00000000A7C0: 7E6A4135
	v_exp_f32_e32 v54, v54                                     // 00000000A7C4: 7E6C4136
	v_exp_f32_e32 v55, v55                                     // 00000000A7C8: 7E6E4137
	buffer_load_dwordx4 a[52:55], v43, s[12:15], 0 offen       // 00000000A7CC: E05C1000 8083342B
	v_add_f32_e64 v52, v52, 1.0                                // 00000000A7D4: D1010034 0001E534
	v_add_f32_e64 v53, v53, 1.0                                // 00000000A7DC: D1010035 0001E535
	v_add_f32_e64 v54, v54, 1.0                                // 00000000A7E4: D1010036 0001E536
	v_add_f32_e64 v55, v55, 1.0                                // 00000000A7EC: D1010037 0001E537
	v_rcp_f32_e32 v52, v52                                     // 00000000A7F4: 7E684534
	v_rcp_f32_e32 v53, v53                                     // 00000000A7F8: 7E6A4535
	v_rcp_f32_e32 v54, v54                                     // 00000000A7FC: 7E6C4536
	v_rcp_f32_e32 v55, v55                                     // 00000000A800: 7E6E4537
	v_mul_f32_e32 v152, v152, v52                              // 00000000A804: 0B306998
	v_mul_f32_e32 v153, v153, v53                              // 00000000A808: 0B326B99
	v_mul_f32_e32 v154, v154, v54                              // 00000000A80C: 0B346D9A
	v_mul_f32_e32 v155, v155, v55                              // 00000000A810: 0B366F9B
	v_mul_f32_e32 v152, v152, v88                              // 00000000A814: 0B30B198
	v_mul_f32_e32 v153, v153, v89                              // 00000000A818: 0B32B399
	v_mul_f32_e32 v154, v154, v90                              // 00000000A81C: 0B34B59A
	v_mul_f32_e32 v155, v155, v91                              // 00000000A820: 0B36B79B
	buffer_load_dwordx4 a[56:59], v44, s[12:15], 0 offen       // 00000000A824: E05C1000 8083382C
	v_mul_f32_e64 v52, -v156, s6                               // 00000000A82C: D1050034 20000D9C
	v_mul_f32_e64 v53, -v157, s6                               // 00000000A834: D1050035 20000D9D
	v_mul_f32_e64 v54, -v158, s6                               // 00000000A83C: D1050036 20000D9E
	v_mul_f32_e64 v55, -v159, s6                               // 00000000A844: D1050037 20000D9F
	v_exp_f32_e32 v52, v52                                     // 00000000A84C: 7E684134
	v_exp_f32_e32 v53, v53                                     // 00000000A850: 7E6A4135
	v_exp_f32_e32 v54, v54                                     // 00000000A854: 7E6C4136
	v_exp_f32_e32 v55, v55                                     // 00000000A858: 7E6E4137
	buffer_load_dwordx4 a[60:63], v45, s[12:15], 0 offen       // 00000000A85C: E05C1000 80833C2D
	s_add_u32 s12, s78, s12                                    // 00000000A864: 800C0C4E
	s_addc_u32 s13, 0, s13                                     // 00000000A868: 820D0D80
	v_add_f32_e64 v52, v52, 1.0                                // 00000000A86C: D1010034 0001E534
	v_add_f32_e64 v53, v53, 1.0                                // 00000000A874: D1010035 0001E535
	v_add_f32_e64 v54, v54, 1.0                                // 00000000A87C: D1010036 0001E536
	v_add_f32_e64 v55, v55, 1.0                                // 00000000A884: D1010037 0001E537
	v_rcp_f32_e32 v52, v52                                     // 00000000A88C: 7E684534
	v_rcp_f32_e32 v53, v53                                     // 00000000A890: 7E6A4535
	v_rcp_f32_e32 v54, v54                                     // 00000000A894: 7E6C4536
	v_rcp_f32_e32 v55, v55                                     // 00000000A898: 7E6E4537
	v_mul_f32_e32 v156, v156, v52                              // 00000000A89C: 0B38699C
	v_mul_f32_e32 v157, v157, v53                              // 00000000A8A0: 0B3A6B9D
	v_mul_f32_e32 v158, v158, v54                              // 00000000A8A4: 0B3C6D9E
	v_mul_f32_e32 v159, v159, v55                              // 00000000A8A8: 0B3E6F9F
	v_mul_f32_e32 v156, v156, v92                              // 00000000A8AC: 0B38B99C
	v_mul_f32_e32 v157, v157, v93                              // 00000000A8B0: 0B3ABB9D
	v_mul_f32_e32 v158, v158, v94                              // 00000000A8B4: 0B3CBD9E
	v_mul_f32_e32 v159, v159, v95                              // 00000000A8B8: 0B3EBF9F
	s_waitcnt vmcnt(28)                                        // 00000000A8BC: BF8C4F7C
	buffer_load_dwordx4 a[64:67], v42, s[12:15], 0 offen       // 00000000A8C0: E05C1000 8083402A
	v_mul_f32_e64 v52, -v160, s6                               // 00000000A8C8: D1050034 20000DA0
	v_mul_f32_e64 v53, -v161, s6                               // 00000000A8D0: D1050035 20000DA1
	v_mul_f32_e64 v54, -v162, s6                               // 00000000A8D8: D1050036 20000DA2
	v_mul_f32_e64 v55, -v163, s6                               // 00000000A8E0: D1050037 20000DA3
	v_exp_f32_e32 v52, v52                                     // 00000000A8E8: 7E684134
	v_exp_f32_e32 v53, v53                                     // 00000000A8EC: 7E6A4135
	v_exp_f32_e32 v54, v54                                     // 00000000A8F0: 7E6C4136
	v_exp_f32_e32 v55, v55                                     // 00000000A8F4: 7E6E4137
	buffer_load_dwordx4 a[68:71], v43, s[12:15], 0 offen       // 00000000A8F8: E05C1000 8083442B
	v_add_f32_e64 v52, v52, 1.0                                // 00000000A900: D1010034 0001E534
	v_add_f32_e64 v53, v53, 1.0                                // 00000000A908: D1010035 0001E535
	v_add_f32_e64 v54, v54, 1.0                                // 00000000A910: D1010036 0001E536
	v_add_f32_e64 v55, v55, 1.0                                // 00000000A918: D1010037 0001E537
	v_rcp_f32_e32 v52, v52                                     // 00000000A920: 7E684534
	v_rcp_f32_e32 v53, v53                                     // 00000000A924: 7E6A4535
	v_rcp_f32_e32 v54, v54                                     // 00000000A928: 7E6C4536
	v_rcp_f32_e32 v55, v55                                     // 00000000A92C: 7E6E4537
	v_mul_f32_e32 v160, v160, v52                              // 00000000A930: 0B4069A0
	v_mul_f32_e32 v161, v161, v53                              // 00000000A934: 0B426BA1
	v_mul_f32_e32 v162, v162, v54                              // 00000000A938: 0B446DA2
	v_mul_f32_e32 v163, v163, v55                              // 00000000A93C: 0B466FA3
	v_mul_f32_e32 v160, v160, v96                              // 00000000A940: 0B40C1A0
	v_mul_f32_e32 v161, v161, v97                              // 00000000A944: 0B42C3A1
	v_mul_f32_e32 v162, v162, v98                              // 00000000A948: 0B44C5A2
	v_mul_f32_e32 v163, v163, v99                              // 00000000A94C: 0B46C7A3
	buffer_load_dwordx4 a[72:75], v44, s[12:15], 0 offen       // 00000000A950: E05C1000 8083482C
	v_mul_f32_e64 v52, -v164, s6                               // 00000000A958: D1050034 20000DA4
	v_mul_f32_e64 v53, -v165, s6                               // 00000000A960: D1050035 20000DA5
	v_mul_f32_e64 v54, -v166, s6                               // 00000000A968: D1050036 20000DA6
	v_mul_f32_e64 v55, -v167, s6                               // 00000000A970: D1050037 20000DA7
	v_exp_f32_e32 v52, v52                                     // 00000000A978: 7E684134
	v_exp_f32_e32 v53, v53                                     // 00000000A97C: 7E6A4135
	v_exp_f32_e32 v54, v54                                     // 00000000A980: 7E6C4136
	v_exp_f32_e32 v55, v55                                     // 00000000A984: 7E6E4137
	buffer_load_dwordx4 a[76:79], v45, s[12:15], 0 offen       // 00000000A988: E05C1000 80834C2D
	s_add_u32 s12, s78, s12                                    // 00000000A990: 800C0C4E
	s_addc_u32 s13, 0, s13                                     // 00000000A994: 820D0D80
	v_add_f32_e64 v52, v52, 1.0                                // 00000000A998: D1010034 0001E534
	v_add_f32_e64 v53, v53, 1.0                                // 00000000A9A0: D1010035 0001E535
	v_add_f32_e64 v54, v54, 1.0                                // 00000000A9A8: D1010036 0001E536
	v_add_f32_e64 v55, v55, 1.0                                // 00000000A9B0: D1010037 0001E537
	v_rcp_f32_e32 v52, v52                                     // 00000000A9B8: 7E684534
	v_rcp_f32_e32 v53, v53                                     // 00000000A9BC: 7E6A4535
	v_rcp_f32_e32 v54, v54                                     // 00000000A9C0: 7E6C4536
	v_rcp_f32_e32 v55, v55                                     // 00000000A9C4: 7E6E4537
	v_mul_f32_e32 v164, v164, v52                              // 00000000A9C8: 0B4869A4
	v_mul_f32_e32 v165, v165, v53                              // 00000000A9CC: 0B4A6BA5
	v_mul_f32_e32 v166, v166, v54                              // 00000000A9D0: 0B4C6DA6
	v_mul_f32_e32 v167, v167, v55                              // 00000000A9D4: 0B4E6FA7
	v_mul_f32_e32 v164, v164, v100                             // 00000000A9D8: 0B48C9A4
	v_mul_f32_e32 v165, v165, v101                             // 00000000A9DC: 0B4ACBA5
	v_mul_f32_e32 v166, v166, v102                             // 00000000A9E0: 0B4CCDA6
	v_mul_f32_e32 v167, v167, v103                             // 00000000A9E4: 0B4ECFA7
	s_waitcnt vmcnt(28)                                        // 00000000A9E8: BF8C4F7C
	buffer_load_dwordx4 a[80:83], v42, s[12:15], 0 offen       // 00000000A9EC: E05C1000 8083502A
	v_mul_f32_e64 v52, -v168, s6                               // 00000000A9F4: D1050034 20000DA8
	v_mul_f32_e64 v53, -v169, s6                               // 00000000A9FC: D1050035 20000DA9
	v_mul_f32_e64 v54, -v170, s6                               // 00000000AA04: D1050036 20000DAA
	v_mul_f32_e64 v55, -v171, s6                               // 00000000AA0C: D1050037 20000DAB
	v_exp_f32_e32 v52, v52                                     // 00000000AA14: 7E684134
	v_exp_f32_e32 v53, v53                                     // 00000000AA18: 7E6A4135
	v_exp_f32_e32 v54, v54                                     // 00000000AA1C: 7E6C4136
	v_exp_f32_e32 v55, v55                                     // 00000000AA20: 7E6E4137
	buffer_load_dwordx4 a[84:87], v43, s[12:15], 0 offen       // 00000000AA24: E05C1000 8083542B
	v_add_f32_e64 v52, v52, 1.0                                // 00000000AA2C: D1010034 0001E534
	v_add_f32_e64 v53, v53, 1.0                                // 00000000AA34: D1010035 0001E535
	v_add_f32_e64 v54, v54, 1.0                                // 00000000AA3C: D1010036 0001E536
	v_add_f32_e64 v55, v55, 1.0                                // 00000000AA44: D1010037 0001E537
	v_rcp_f32_e32 v52, v52                                     // 00000000AA4C: 7E684534
	v_rcp_f32_e32 v53, v53                                     // 00000000AA50: 7E6A4535
	v_rcp_f32_e32 v54, v54                                     // 00000000AA54: 7E6C4536
	v_rcp_f32_e32 v55, v55                                     // 00000000AA58: 7E6E4537
	v_mul_f32_e32 v168, v168, v52                              // 00000000AA5C: 0B5069A8
	v_mul_f32_e32 v169, v169, v53                              // 00000000AA60: 0B526BA9
	v_mul_f32_e32 v170, v170, v54                              // 00000000AA64: 0B546DAA
	v_mul_f32_e32 v171, v171, v55                              // 00000000AA68: 0B566FAB
	v_mul_f32_e32 v168, v168, v104                             // 00000000AA6C: 0B50D1A8
	v_mul_f32_e32 v169, v169, v105                             // 00000000AA70: 0B52D3A9
	v_mul_f32_e32 v170, v170, v106                             // 00000000AA74: 0B54D5AA
	v_mul_f32_e32 v171, v171, v107                             // 00000000AA78: 0B56D7AB
	buffer_load_dwordx4 a[88:91], v44, s[12:15], 0 offen       // 00000000AA7C: E05C1000 8083582C
	v_mul_f32_e64 v52, -v172, s6                               // 00000000AA84: D1050034 20000DAC
	v_mul_f32_e64 v53, -v173, s6                               // 00000000AA8C: D1050035 20000DAD
	v_mul_f32_e64 v54, -v174, s6                               // 00000000AA94: D1050036 20000DAE
	v_mul_f32_e64 v55, -v175, s6                               // 00000000AA9C: D1050037 20000DAF
	v_exp_f32_e32 v52, v52                                     // 00000000AAA4: 7E684134
	v_exp_f32_e32 v53, v53                                     // 00000000AAA8: 7E6A4135
	v_exp_f32_e32 v54, v54                                     // 00000000AAAC: 7E6C4136
	v_exp_f32_e32 v55, v55                                     // 00000000AAB0: 7E6E4137
	buffer_load_dwordx4 a[92:95], v45, s[12:15], 0 offen       // 00000000AAB4: E05C1000 80835C2D
	s_add_u32 s12, s78, s12                                    // 00000000AABC: 800C0C4E
	s_addc_u32 s13, 0, s13                                     // 00000000AAC0: 820D0D80
	v_add_f32_e64 v52, v52, 1.0                                // 00000000AAC4: D1010034 0001E534
	v_add_f32_e64 v53, v53, 1.0                                // 00000000AACC: D1010035 0001E535
	v_add_f32_e64 v54, v54, 1.0                                // 00000000AAD4: D1010036 0001E536
	v_add_f32_e64 v55, v55, 1.0                                // 00000000AADC: D1010037 0001E537
	v_rcp_f32_e32 v52, v52                                     // 00000000AAE4: 7E684534
	v_rcp_f32_e32 v53, v53                                     // 00000000AAE8: 7E6A4535
	v_rcp_f32_e32 v54, v54                                     // 00000000AAEC: 7E6C4536
	v_rcp_f32_e32 v55, v55                                     // 00000000AAF0: 7E6E4537
	v_mul_f32_e32 v172, v172, v52                              // 00000000AAF4: 0B5869AC
	v_mul_f32_e32 v173, v173, v53                              // 00000000AAF8: 0B5A6BAD
	v_mul_f32_e32 v174, v174, v54                              // 00000000AAFC: 0B5C6DAE
	v_mul_f32_e32 v175, v175, v55                              // 00000000AB00: 0B5E6FAF
	v_mul_f32_e32 v172, v172, v108                             // 00000000AB04: 0B58D9AC
	v_mul_f32_e32 v173, v173, v109                             // 00000000AB08: 0B5ADBAD
	v_mul_f32_e32 v174, v174, v110                             // 00000000AB0C: 0B5CDDAE
	v_mul_f32_e32 v175, v175, v111                             // 00000000AB10: 0B5EDFAF
	s_waitcnt vmcnt(28)                                        // 00000000AB14: BF8C4F7C
	buffer_load_dwordx4 a[96:99], v42, s[12:15], 0 offen       // 00000000AB18: E05C1000 8083602A
	v_mul_f32_e64 v52, -v176, s6                               // 00000000AB20: D1050034 20000DB0
	v_mul_f32_e64 v53, -v177, s6                               // 00000000AB28: D1050035 20000DB1
	v_mul_f32_e64 v54, -v178, s6                               // 00000000AB30: D1050036 20000DB2
	v_mul_f32_e64 v55, -v179, s6                               // 00000000AB38: D1050037 20000DB3
	v_exp_f32_e32 v52, v52                                     // 00000000AB40: 7E684134
	v_exp_f32_e32 v53, v53                                     // 00000000AB44: 7E6A4135
	v_exp_f32_e32 v54, v54                                     // 00000000AB48: 7E6C4136
	v_exp_f32_e32 v55, v55                                     // 00000000AB4C: 7E6E4137
	buffer_load_dwordx4 a[100:103], v43, s[12:15], 0 offen     // 00000000AB50: E05C1000 8083642B
	v_add_f32_e64 v52, v52, 1.0                                // 00000000AB58: D1010034 0001E534
	v_add_f32_e64 v53, v53, 1.0                                // 00000000AB60: D1010035 0001E535
	v_add_f32_e64 v54, v54, 1.0                                // 00000000AB68: D1010036 0001E536
	v_add_f32_e64 v55, v55, 1.0                                // 00000000AB70: D1010037 0001E537
	v_rcp_f32_e32 v52, v52                                     // 00000000AB78: 7E684534
	v_rcp_f32_e32 v53, v53                                     // 00000000AB7C: 7E6A4535
	v_rcp_f32_e32 v54, v54                                     // 00000000AB80: 7E6C4536
	v_rcp_f32_e32 v55, v55                                     // 00000000AB84: 7E6E4537
	v_mul_f32_e32 v176, v176, v52                              // 00000000AB88: 0B6069B0
	v_mul_f32_e32 v177, v177, v53                              // 00000000AB8C: 0B626BB1
	v_mul_f32_e32 v178, v178, v54                              // 00000000AB90: 0B646DB2
	v_mul_f32_e32 v179, v179, v55                              // 00000000AB94: 0B666FB3
	v_mul_f32_e32 v176, v176, v112                             // 00000000AB98: 0B60E1B0
	v_mul_f32_e32 v177, v177, v113                             // 00000000AB9C: 0B62E3B1
	v_mul_f32_e32 v178, v178, v114                             // 00000000ABA0: 0B64E5B2
	v_mul_f32_e32 v179, v179, v115                             // 00000000ABA4: 0B66E7B3
	buffer_load_dwordx4 a[104:107], v44, s[12:15], 0 offen     // 00000000ABA8: E05C1000 8083682C
	v_mul_f32_e64 v52, -v180, s6                               // 00000000ABB0: D1050034 20000DB4
	v_mul_f32_e64 v53, -v181, s6                               // 00000000ABB8: D1050035 20000DB5
	v_mul_f32_e64 v54, -v182, s6                               // 00000000ABC0: D1050036 20000DB6
	v_mul_f32_e64 v55, -v183, s6                               // 00000000ABC8: D1050037 20000DB7
	v_exp_f32_e32 v52, v52                                     // 00000000ABD0: 7E684134
	v_exp_f32_e32 v53, v53                                     // 00000000ABD4: 7E6A4135
	v_exp_f32_e32 v54, v54                                     // 00000000ABD8: 7E6C4136
	v_exp_f32_e32 v55, v55                                     // 00000000ABDC: 7E6E4137
	buffer_load_dwordx4 a[108:111], v45, s[12:15], 0 offen     // 00000000ABE0: E05C1000 80836C2D
	s_add_u32 s12, s78, s12                                    // 00000000ABE8: 800C0C4E
	s_addc_u32 s13, 0, s13                                     // 00000000ABEC: 820D0D80
	v_add_f32_e64 v52, v52, 1.0                                // 00000000ABF0: D1010034 0001E534
	v_add_f32_e64 v53, v53, 1.0                                // 00000000ABF8: D1010035 0001E535
	v_add_f32_e64 v54, v54, 1.0                                // 00000000AC00: D1010036 0001E536
	v_add_f32_e64 v55, v55, 1.0                                // 00000000AC08: D1010037 0001E537
	v_rcp_f32_e32 v52, v52                                     // 00000000AC10: 7E684534
	v_rcp_f32_e32 v53, v53                                     // 00000000AC14: 7E6A4535
	v_rcp_f32_e32 v54, v54                                     // 00000000AC18: 7E6C4536
	v_rcp_f32_e32 v55, v55                                     // 00000000AC1C: 7E6E4537
	v_mul_f32_e32 v180, v180, v52                              // 00000000AC20: 0B6869B4
	v_mul_f32_e32 v181, v181, v53                              // 00000000AC24: 0B6A6BB5
	v_mul_f32_e32 v182, v182, v54                              // 00000000AC28: 0B6C6DB6
	v_mul_f32_e32 v183, v183, v55                              // 00000000AC2C: 0B6E6FB7
	v_mul_f32_e32 v180, v180, v116                             // 00000000AC30: 0B68E9B4
	v_mul_f32_e32 v181, v181, v117                             // 00000000AC34: 0B6AEBB5
	v_mul_f32_e32 v182, v182, v118                             // 00000000AC38: 0B6CEDB6
	v_mul_f32_e32 v183, v183, v119                             // 00000000AC3C: 0B6EEFB7
	s_waitcnt vmcnt(28)                                        // 00000000AC40: BF8C4F7C
	buffer_load_dwordx4 a[112:115], v42, s[12:15], 0 offen     // 00000000AC44: E05C1000 8083702A
	v_mul_f32_e64 v52, -v184, s6                               // 00000000AC4C: D1050034 20000DB8
	v_mul_f32_e64 v53, -v185, s6                               // 00000000AC54: D1050035 20000DB9
	v_mul_f32_e64 v54, -v186, s6                               // 00000000AC5C: D1050036 20000DBA
	v_mul_f32_e64 v55, -v187, s6                               // 00000000AC64: D1050037 20000DBB
	v_exp_f32_e32 v52, v52                                     // 00000000AC6C: 7E684134
	v_exp_f32_e32 v53, v53                                     // 00000000AC70: 7E6A4135
	v_exp_f32_e32 v54, v54                                     // 00000000AC74: 7E6C4136
	v_exp_f32_e32 v55, v55                                     // 00000000AC78: 7E6E4137
	buffer_load_dwordx4 a[116:119], v43, s[12:15], 0 offen     // 00000000AC7C: E05C1000 8083742B
	v_add_f32_e64 v52, v52, 1.0                                // 00000000AC84: D1010034 0001E534
	v_add_f32_e64 v53, v53, 1.0                                // 00000000AC8C: D1010035 0001E535
	v_add_f32_e64 v54, v54, 1.0                                // 00000000AC94: D1010036 0001E536
	v_add_f32_e64 v55, v55, 1.0                                // 00000000AC9C: D1010037 0001E537
	v_rcp_f32_e32 v52, v52                                     // 00000000ACA4: 7E684534
	v_rcp_f32_e32 v53, v53                                     // 00000000ACA8: 7E6A4535
	v_rcp_f32_e32 v54, v54                                     // 00000000ACAC: 7E6C4536
	v_rcp_f32_e32 v55, v55                                     // 00000000ACB0: 7E6E4537
	v_mul_f32_e32 v184, v184, v52                              // 00000000ACB4: 0B7069B8
	v_mul_f32_e32 v185, v185, v53                              // 00000000ACB8: 0B726BB9
	v_mul_f32_e32 v186, v186, v54                              // 00000000ACBC: 0B746DBA
	v_mul_f32_e32 v187, v187, v55                              // 00000000ACC0: 0B766FBB
	v_mul_f32_e32 v184, v184, v120                             // 00000000ACC4: 0B70F1B8
	v_mul_f32_e32 v185, v185, v121                             // 00000000ACC8: 0B72F3B9
	v_mul_f32_e32 v186, v186, v122                             // 00000000ACCC: 0B74F5BA
	v_mul_f32_e32 v187, v187, v123                             // 00000000ACD0: 0B76F7BB
	buffer_load_dwordx4 a[120:123], v44, s[12:15], 0 offen     // 00000000ACD4: E05C1000 8083782C
	v_mul_f32_e64 v52, -v188, s6                               // 00000000ACDC: D1050034 20000DBC
	v_mul_f32_e64 v53, -v189, s6                               // 00000000ACE4: D1050035 20000DBD
	v_mul_f32_e64 v54, -v190, s6                               // 00000000ACEC: D1050036 20000DBE
	v_mul_f32_e64 v55, -v191, s6                               // 00000000ACF4: D1050037 20000DBF
	v_exp_f32_e32 v52, v52                                     // 00000000ACFC: 7E684134
	v_exp_f32_e32 v53, v53                                     // 00000000AD00: 7E6A4135
	v_exp_f32_e32 v54, v54                                     // 00000000AD04: 7E6C4136
	v_exp_f32_e32 v55, v55                                     // 00000000AD08: 7E6E4137
	buffer_load_dwordx4 a[124:127], v45, s[12:15], 0 offen     // 00000000AD0C: E05C1000 80837C2D
	v_add_f32_e64 v52, v52, 1.0                                // 00000000AD14: D1010034 0001E534
	v_add_f32_e64 v53, v53, 1.0                                // 00000000AD1C: D1010035 0001E535
	v_add_f32_e64 v54, v54, 1.0                                // 00000000AD24: D1010036 0001E536
	v_add_f32_e64 v55, v55, 1.0                                // 00000000AD2C: D1010037 0001E537
	v_rcp_f32_e32 v52, v52                                     // 00000000AD34: 7E684534
	v_rcp_f32_e32 v53, v53                                     // 00000000AD38: 7E6A4535
	v_rcp_f32_e32 v54, v54                                     // 00000000AD3C: 7E6C4536
	v_rcp_f32_e32 v55, v55                                     // 00000000AD40: 7E6E4537
	v_mul_f32_e32 v188, v188, v52                              // 00000000AD44: 0B7869BC
	v_mul_f32_e32 v189, v189, v53                              // 00000000AD48: 0B7A6BBD
	v_mul_f32_e32 v190, v190, v54                              // 00000000AD4C: 0B7C6DBE
	v_mul_f32_e32 v191, v191, v55                              // 00000000AD50: 0B7E6FBF
	v_mul_f32_e32 v188, v188, v124                             // 00000000AD54: 0B78F9BC
	v_mul_f32_e32 v189, v189, v125                             // 00000000AD58: 0B7AFBBD
	v_mul_f32_e32 v190, v190, v126                             // 00000000AD5C: 0B7CFDBE
	v_mul_f32_e32 v191, v191, v127                             // 00000000AD60: 0B7EFFBF
	v_lshlrev_b32_e32 v52, 2, v0                               // 00000000AD64: 24680082
	s_mul_i32 s60, s82, s71                                    // 00000000AD68: 923C4752
	v_add_u32_e64 v80, v52, s60                                // 00000000AD6C: D1340050 00007934
	v_mov_b32_e32 v81, 0                                       // 00000000AD74: 7EA20280
	s_mul_i32 s60, s83, s71                                    // 00000000AD78: 923C4753
	v_add_u32_e64 v82, v52, s60                                // 00000000AD7C: D1340052 00007934
	v_mov_b32_e32 v83, 0                                       // 00000000AD84: 7EA60280
	s_mul_i32 s60, s84, s71                                    // 00000000AD88: 923C4754
	v_add_u32_e64 v84, v52, s60                                // 00000000AD8C: D1340054 00007934
	v_mov_b32_e32 v85, 0                                       // 00000000AD94: 7EAA0280
	s_mul_i32 s60, s85, s71                                    // 00000000AD98: 923C4755
	v_add_u32_e64 v86, v52, s60                                // 00000000AD9C: D1340056 00007934
	v_mov_b32_e32 v87, 0                                       // 00000000ADA4: 7EAE0280
	s_mul_i32 s60, s86, s71                                    // 00000000ADA8: 923C4756
	v_add_u32_e64 v88, v52, s60                                // 00000000ADAC: D1340058 00007934
	v_mov_b32_e32 v89, 0                                       // 00000000ADB4: 7EB20280
	s_mul_i32 s60, s87, s71                                    // 00000000ADB8: 923C4757
	v_add_u32_e64 v90, v52, s60                                // 00000000ADBC: D134005A 00007934
	v_mov_b32_e32 v91, 0                                       // 00000000ADC4: 7EB60280
	s_mul_i32 s60, s88, s71                                    // 00000000ADC8: 923C4758
	v_add_u32_e64 v92, v52, s60                                // 00000000ADCC: D134005C 00007934
	v_mov_b32_e32 v93, 0                                       // 00000000ADD4: 7EBA0280
	s_mul_i32 s60, s89, s71                                    // 00000000ADD8: 923C4759
	v_add_u32_e64 v94, v52, s60                                // 00000000ADDC: D134005E 00007934
	v_mov_b32_e32 v95, 0                                       // 00000000ADE4: 7EBE0280
	buffer_load_dword v12, v5, s[16:19], 0 offen               // 00000000ADE8: E0501000 80040C05
	v_mov_b32_e32 v22, 0x358637bd                              // 00000000ADF0: 7E2C02FF 358637BD
	v_mov_b32_e32 v23, 0x358637bd                              // 00000000ADF8: 7E2E02FF 358637BD
	v_max3_f32 v22, |v128|, |v129|, v22                        // 00000000AE00: D1D30316 045B0380
	v_max3_f32 v22, |v130|, |v131|, v22                        // 00000000AE08: D1D30316 045B0782
	v_max3_f32 v23, |v132|, |v133|, v23                        // 00000000AE10: D1D30317 045F0B84
	v_max3_f32 v23, |v134|, |v135|, v23                        // 00000000AE18: D1D30317 045F0F86
	v_max3_f32 v22, |v136|, |v137|, v22                        // 00000000AE20: D1D30316 045B1388
	v_max3_f32 v22, |v138|, |v139|, v22                        // 00000000AE28: D1D30316 045B178A
	v_max3_f32 v23, |v140|, |v141|, v23                        // 00000000AE30: D1D30317 045F1B8C
	v_max3_f32 v23, |v142|, |v143|, v23                        // 00000000AE38: D1D30317 045F1F8E
	v_max3_f32 v22, |v144|, |v145|, v22                        // 00000000AE40: D1D30316 045B2390
	v_max3_f32 v22, |v146|, |v147|, v22                        // 00000000AE48: D1D30316 045B2792
	v_max3_f32 v23, |v148|, |v149|, v23                        // 00000000AE50: D1D30317 045F2B94
	v_max3_f32 v23, |v150|, |v151|, v23                        // 00000000AE58: D1D30317 045F2F96
	v_max3_f32 v22, |v152|, |v153|, v22                        // 00000000AE60: D1D30316 045B3398
	v_max3_f32 v22, |v154|, |v155|, v22                        // 00000000AE68: D1D30316 045B379A
	v_max3_f32 v23, |v156|, |v157|, v23                        // 00000000AE70: D1D30317 045F3B9C
	v_max3_f32 v23, |v158|, |v159|, v23                        // 00000000AE78: D1D30317 045F3F9E
	v_max3_f32 v22, |v160|, |v161|, v22                        // 00000000AE80: D1D30316 045B43A0
	v_max3_f32 v22, |v162|, |v163|, v22                        // 00000000AE88: D1D30316 045B47A2
	v_max3_f32 v23, |v164|, |v165|, v23                        // 00000000AE90: D1D30317 045F4BA4
	v_max3_f32 v23, |v166|, |v167|, v23                        // 00000000AE98: D1D30317 045F4FA6
	v_max3_f32 v22, |v168|, |v169|, v22                        // 00000000AEA0: D1D30316 045B53A8
	v_max3_f32 v22, |v170|, |v171|, v22                        // 00000000AEA8: D1D30316 045B57AA
	v_max3_f32 v23, |v172|, |v173|, v23                        // 00000000AEB0: D1D30317 045F5BAC
	v_max3_f32 v23, |v174|, |v175|, v23                        // 00000000AEB8: D1D30317 045F5FAE
	v_max3_f32 v22, |v176|, |v177|, v22                        // 00000000AEC0: D1D30316 045B63B0
	v_max3_f32 v22, |v178|, |v179|, v22                        // 00000000AEC8: D1D30316 045B67B2
	v_max3_f32 v23, |v180|, |v181|, v23                        // 00000000AED0: D1D30317 045F6BB4
	v_max3_f32 v23, |v182|, |v183|, v23                        // 00000000AED8: D1D30317 045F6FB6
	v_max3_f32 v22, |v184|, |v185|, v22                        // 00000000AEE0: D1D30316 045B73B8
	v_max3_f32 v22, |v186|, |v187|, v22                        // 00000000AEE8: D1D30316 045B77BA
	v_max3_f32 v23, |v188|, |v189|, v23                        // 00000000AEF0: D1D30317 045F7BBC
	v_max3_f32 v23, |v190|, |v191|, v23                        // 00000000AEF8: D1D30317 045F7FBE
	v_lshlrev_b32_e32 v52, 3, v0                               // 00000000AF00: 24680083
	s_mul_i32 s60, 0x200, s7                                   // 00000000AF04: 923C07FF 00000200
	v_add_u32_e32 v52, s60, v52                                // 00000000AF0C: 6868683C
	ds_write_b64 v52, v[22:23] offset:16640                    // 00000000AF10: D89A4100 00001634
	s_waitcnt lgkmcnt(0)                                       // 00000000AF18: BF8CC07F
	s_barrier                                                  // 00000000AF1C: BF8A0000
	v_and_b32_e32 v52, 15, v0                                  // 00000000AF20: 2668008F
	v_lshlrev_b32_e32 v52, 3, v52                              // 00000000AF24: 24686883
	ds_read_b64 v[96:97], v52 offset:16640                     // 00000000AF28: D8EC4100 60000034
	ds_read_b64 v[98:99], v52 offset:16768                     // 00000000AF30: D8EC4180 62000034
	ds_read_b64 v[100:101], v52 offset:16896                   // 00000000AF38: D8EC4200 64000034
	ds_read_b64 v[102:103], v52 offset:17024                   // 00000000AF40: D8EC4280 66000034
	ds_read_b64 v[104:105], v52 offset:17152                   // 00000000AF48: D8EC4300 68000034
	ds_read_b64 v[106:107], v52 offset:17280                   // 00000000AF50: D8EC4380 6A000034
	ds_read_b64 v[108:109], v52 offset:17408                   // 00000000AF58: D8EC4400 6C000034
	ds_read_b64 v[110:111], v52 offset:17536                   // 00000000AF60: D8EC4480 6E000034
	ds_read_b64 v[112:113], v52 offset:17664                   // 00000000AF68: D8EC4500 70000034
	ds_read_b64 v[114:115], v52 offset:17792                   // 00000000AF70: D8EC4580 72000034
	ds_read_b64 v[116:117], v52 offset:17920                   // 00000000AF78: D8EC4600 74000034
	ds_read_b64 v[118:119], v52 offset:18048                   // 00000000AF80: D8EC4680 76000034
	ds_read_b64 v[120:121], v52 offset:18176                   // 00000000AF88: D8EC4700 78000034
	ds_read_b64 v[122:123], v52 offset:18304                   // 00000000AF90: D8EC4780 7A000034
	ds_read_b64 v[124:125], v52 offset:18432                   // 00000000AF98: D8EC4800 7C000034
	ds_read_b64 v[126:127], v52 offset:18560                   // 00000000AFA0: D8EC4880 7E000034
	s_waitcnt lgkmcnt(0)                                       // 00000000AFA8: BF8CC07F
	v_max3_f32 v22, |v96|, |v98|, v22                          // 00000000AFAC: D1D30316 045AC560
	v_max3_f32 v23, |v97|, |v99|, v23                          // 00000000AFB4: D1D30317 045EC761
	v_max3_f32 v22, |v100|, |v102|, v22                        // 00000000AFBC: D1D30316 045ACD64
	v_max3_f32 v23, |v101|, |v103|, v23                        // 00000000AFC4: D1D30317 045ECF65
	v_max3_f32 v22, |v104|, |v106|, v22                        // 00000000AFCC: D1D30316 045AD568
	v_max3_f32 v23, |v105|, |v107|, v23                        // 00000000AFD4: D1D30317 045ED769
	v_max3_f32 v22, |v108|, |v110|, v22                        // 00000000AFDC: D1D30316 045ADD6C
	v_max3_f32 v23, |v109|, |v111|, v23                        // 00000000AFE4: D1D30317 045EDF6D
	v_max3_f32 v22, |v112|, |v114|, v22                        // 00000000AFEC: D1D30316 045AE570
	v_max3_f32 v23, |v113|, |v115|, v23                        // 00000000AFF4: D1D30317 045EE771
	v_max3_f32 v22, |v116|, |v118|, v22                        // 00000000AFFC: D1D30316 045AED74
	v_max3_f32 v23, |v117|, |v119|, v23                        // 00000000B004: D1D30317 045EEF75
	v_max3_f32 v22, |v120|, |v122|, v22                        // 00000000B00C: D1D30316 045AF578
	v_max3_f32 v23, |v121|, |v123|, v23                        // 00000000B014: D1D30317 045EF779
	v_max3_f32 v22, |v124|, |v126|, v22                        // 00000000B01C: D1D30316 045AFD7C
	v_max3_f32 v23, |v125|, |v127|, v23                        // 00000000B024: D1D30317 045EFF7D
	v_rcp_f32_e32 v22, v22                                     // 00000000B02C: 7E2C4516
	v_rcp_f32_e32 v23, v23                                     // 00000000B030: 7E2E4517
	v_mul_f32_e32 v22, 0x42fe0000, v22                         // 00000000B034: 0A2C2CFF 42FE0000
	v_mul_f32_e32 v23, 0x42fe0000, v23                         // 00000000B03C: 0A2E2EFF 42FE0000
	v_mul_f32_e32 v128, v22, v128                              // 00000000B044: 0B010116
	v_mul_f32_e32 v129, v22, v129                              // 00000000B048: 0B030316
	v_mul_f32_e32 v130, v22, v130                              // 00000000B04C: 0B050516
	v_mul_f32_e32 v131, v22, v131                              // 00000000B050: 0B070716
	v_cvt_i32_f32_e32 v128, v128                               // 00000000B054: 7F001180
	v_cvt_i32_f32_e32 v129, v129                               // 00000000B058: 7F021181
	v_cvt_i32_f32_e32 v130, v130                               // 00000000B05C: 7F041182
	v_cvt_i32_f32_e32 v131, v131                               // 00000000B060: 7F061183
	v_perm_b32 v128, v129, v128, s53                           // 00000000B064: D1ED0080 00D70181
	v_perm_b32 v128, v130, v128, s54                           // 00000000B06C: D1ED0080 00DB0182
	v_perm_b32 v128, v131, v128, s55                           // 00000000B074: D1ED0080 00DF0183
	v_mul_f32_e32 v132, v23, v132                              // 00000000B07C: 0B090917
	v_mul_f32_e32 v133, v23, v133                              // 00000000B080: 0B0B0B17
	v_mul_f32_e32 v134, v23, v134                              // 00000000B084: 0B0D0D17
	v_mul_f32_e32 v135, v23, v135                              // 00000000B088: 0B0F0F17
	v_cvt_i32_f32_e32 v132, v132                               // 00000000B08C: 7F081184
	v_cvt_i32_f32_e32 v133, v133                               // 00000000B090: 7F0A1185
	v_cvt_i32_f32_e32 v134, v134                               // 00000000B094: 7F0C1186
	v_cvt_i32_f32_e32 v135, v135                               // 00000000B098: 7F0E1187
	v_perm_b32 v129, v133, v132, s53                           // 00000000B09C: D1ED0081 00D70985
	v_perm_b32 v129, v134, v129, s54                           // 00000000B0A4: D1ED0081 00DB0386
	v_perm_b32 v129, v135, v129, s55                           // 00000000B0AC: D1ED0081 00DF0387
	v_mul_f32_e32 v136, v22, v136                              // 00000000B0B4: 0B111116
	v_mul_f32_e32 v137, v22, v137                              // 00000000B0B8: 0B131316
	v_mul_f32_e32 v138, v22, v138                              // 00000000B0BC: 0B151516
	v_mul_f32_e32 v139, v22, v139                              // 00000000B0C0: 0B171716
	v_cvt_i32_f32_e32 v136, v136                               // 00000000B0C4: 7F101188
	v_cvt_i32_f32_e32 v137, v137                               // 00000000B0C8: 7F121189
	v_cvt_i32_f32_e32 v138, v138                               // 00000000B0CC: 7F14118A
	v_cvt_i32_f32_e32 v139, v139                               // 00000000B0D0: 7F16118B
	v_perm_b32 v130, v137, v136, s53                           // 00000000B0D4: D1ED0082 00D71189
	v_perm_b32 v130, v138, v130, s54                           // 00000000B0DC: D1ED0082 00DB058A
	v_perm_b32 v130, v139, v130, s55                           // 00000000B0E4: D1ED0082 00DF058B
	v_mul_f32_e32 v140, v23, v140                              // 00000000B0EC: 0B191917
	v_mul_f32_e32 v141, v23, v141                              // 00000000B0F0: 0B1B1B17
	v_mul_f32_e32 v142, v23, v142                              // 00000000B0F4: 0B1D1D17
	v_mul_f32_e32 v143, v23, v143                              // 00000000B0F8: 0B1F1F17
	v_cvt_i32_f32_e32 v140, v140                               // 00000000B0FC: 7F18118C
	v_cvt_i32_f32_e32 v141, v141                               // 00000000B100: 7F1A118D
	v_cvt_i32_f32_e32 v142, v142                               // 00000000B104: 7F1C118E
	v_cvt_i32_f32_e32 v143, v143                               // 00000000B108: 7F1E118F
	v_perm_b32 v131, v141, v140, s53                           // 00000000B10C: D1ED0083 00D7198D
	v_perm_b32 v131, v142, v131, s54                           // 00000000B114: D1ED0083 00DB078E
	v_perm_b32 v131, v143, v131, s55                           // 00000000B11C: D1ED0083 00DF078F
	v_mul_f32_e32 v144, v22, v144                              // 00000000B124: 0B212116
	v_mul_f32_e32 v145, v22, v145                              // 00000000B128: 0B232316
	v_mul_f32_e32 v146, v22, v146                              // 00000000B12C: 0B252516
	v_mul_f32_e32 v147, v22, v147                              // 00000000B130: 0B272716
	v_cvt_i32_f32_e32 v144, v144                               // 00000000B134: 7F201190
	v_cvt_i32_f32_e32 v145, v145                               // 00000000B138: 7F221191
	v_cvt_i32_f32_e32 v146, v146                               // 00000000B13C: 7F241192
	v_cvt_i32_f32_e32 v147, v147                               // 00000000B140: 7F261193
	v_perm_b32 v132, v145, v144, s53                           // 00000000B144: D1ED0084 00D72191
	v_perm_b32 v132, v146, v132, s54                           // 00000000B14C: D1ED0084 00DB0992
	v_perm_b32 v132, v147, v132, s55                           // 00000000B154: D1ED0084 00DF0993
	v_mul_f32_e32 v148, v23, v148                              // 00000000B15C: 0B292917
	v_mul_f32_e32 v149, v23, v149                              // 00000000B160: 0B2B2B17
	v_mul_f32_e32 v150, v23, v150                              // 00000000B164: 0B2D2D17
	v_mul_f32_e32 v151, v23, v151                              // 00000000B168: 0B2F2F17
	v_cvt_i32_f32_e32 v148, v148                               // 00000000B16C: 7F281194
	v_cvt_i32_f32_e32 v149, v149                               // 00000000B170: 7F2A1195
	v_cvt_i32_f32_e32 v150, v150                               // 00000000B174: 7F2C1196
	v_cvt_i32_f32_e32 v151, v151                               // 00000000B178: 7F2E1197
	v_perm_b32 v133, v149, v148, s53                           // 00000000B17C: D1ED0085 00D72995
	v_perm_b32 v133, v150, v133, s54                           // 00000000B184: D1ED0085 00DB0B96
	v_perm_b32 v133, v151, v133, s55                           // 00000000B18C: D1ED0085 00DF0B97
	v_mul_f32_e32 v152, v22, v152                              // 00000000B194: 0B313116
	v_mul_f32_e32 v153, v22, v153                              // 00000000B198: 0B333316
	v_mul_f32_e32 v154, v22, v154                              // 00000000B19C: 0B353516
	v_mul_f32_e32 v155, v22, v155                              // 00000000B1A0: 0B373716
	v_cvt_i32_f32_e32 v152, v152                               // 00000000B1A4: 7F301198
	v_cvt_i32_f32_e32 v153, v153                               // 00000000B1A8: 7F321199
	v_cvt_i32_f32_e32 v154, v154                               // 00000000B1AC: 7F34119A
	v_cvt_i32_f32_e32 v155, v155                               // 00000000B1B0: 7F36119B
	v_perm_b32 v134, v153, v152, s53                           // 00000000B1B4: D1ED0086 00D73199
	v_perm_b32 v134, v154, v134, s54                           // 00000000B1BC: D1ED0086 00DB0D9A
	v_perm_b32 v134, v155, v134, s55                           // 00000000B1C4: D1ED0086 00DF0D9B
	v_mul_f32_e32 v156, v23, v156                              // 00000000B1CC: 0B393917
	v_mul_f32_e32 v157, v23, v157                              // 00000000B1D0: 0B3B3B17
	v_mul_f32_e32 v158, v23, v158                              // 00000000B1D4: 0B3D3D17
	v_mul_f32_e32 v159, v23, v159                              // 00000000B1D8: 0B3F3F17
	v_cvt_i32_f32_e32 v156, v156                               // 00000000B1DC: 7F38119C
	v_cvt_i32_f32_e32 v157, v157                               // 00000000B1E0: 7F3A119D
	v_cvt_i32_f32_e32 v158, v158                               // 00000000B1E4: 7F3C119E
	v_cvt_i32_f32_e32 v159, v159                               // 00000000B1E8: 7F3E119F
	v_perm_b32 v135, v157, v156, s53                           // 00000000B1EC: D1ED0087 00D7399D
	v_perm_b32 v135, v158, v135, s54                           // 00000000B1F4: D1ED0087 00DB0F9E
	v_perm_b32 v135, v159, v135, s55                           // 00000000B1FC: D1ED0087 00DF0F9F
	v_mul_f32_e32 v160, v22, v160                              // 00000000B204: 0B414116
	v_mul_f32_e32 v161, v22, v161                              // 00000000B208: 0B434316
	v_mul_f32_e32 v162, v22, v162                              // 00000000B20C: 0B454516
	v_mul_f32_e32 v163, v22, v163                              // 00000000B210: 0B474716
	v_cvt_i32_f32_e32 v160, v160                               // 00000000B214: 7F4011A0
	v_cvt_i32_f32_e32 v161, v161                               // 00000000B218: 7F4211A1
	v_cvt_i32_f32_e32 v162, v162                               // 00000000B21C: 7F4411A2
	v_cvt_i32_f32_e32 v163, v163                               // 00000000B220: 7F4611A3
	v_perm_b32 v136, v161, v160, s53                           // 00000000B224: D1ED0088 00D741A1
	v_perm_b32 v136, v162, v136, s54                           // 00000000B22C: D1ED0088 00DB11A2
	v_perm_b32 v136, v163, v136, s55                           // 00000000B234: D1ED0088 00DF11A3
	v_mul_f32_e32 v164, v23, v164                              // 00000000B23C: 0B494917
	v_mul_f32_e32 v165, v23, v165                              // 00000000B240: 0B4B4B17
	v_mul_f32_e32 v166, v23, v166                              // 00000000B244: 0B4D4D17
	v_mul_f32_e32 v167, v23, v167                              // 00000000B248: 0B4F4F17
	v_cvt_i32_f32_e32 v164, v164                               // 00000000B24C: 7F4811A4
	v_cvt_i32_f32_e32 v165, v165                               // 00000000B250: 7F4A11A5
	v_cvt_i32_f32_e32 v166, v166                               // 00000000B254: 7F4C11A6
	v_cvt_i32_f32_e32 v167, v167                               // 00000000B258: 7F4E11A7
	v_perm_b32 v137, v165, v164, s53                           // 00000000B25C: D1ED0089 00D749A5
	v_perm_b32 v137, v166, v137, s54                           // 00000000B264: D1ED0089 00DB13A6
	v_perm_b32 v137, v167, v137, s55                           // 00000000B26C: D1ED0089 00DF13A7
	v_mul_f32_e32 v168, v22, v168                              // 00000000B274: 0B515116
	v_mul_f32_e32 v169, v22, v169                              // 00000000B278: 0B535316
	v_mul_f32_e32 v170, v22, v170                              // 00000000B27C: 0B555516
	v_mul_f32_e32 v171, v22, v171                              // 00000000B280: 0B575716
	v_cvt_i32_f32_e32 v168, v168                               // 00000000B284: 7F5011A8
	v_cvt_i32_f32_e32 v169, v169                               // 00000000B288: 7F5211A9
	v_cvt_i32_f32_e32 v170, v170                               // 00000000B28C: 7F5411AA
	v_cvt_i32_f32_e32 v171, v171                               // 00000000B290: 7F5611AB
	v_perm_b32 v138, v169, v168, s53                           // 00000000B294: D1ED008A 00D751A9
	v_perm_b32 v138, v170, v138, s54                           // 00000000B29C: D1ED008A 00DB15AA
	v_perm_b32 v138, v171, v138, s55                           // 00000000B2A4: D1ED008A 00DF15AB
	v_mul_f32_e32 v172, v23, v172                              // 00000000B2AC: 0B595917
	v_mul_f32_e32 v173, v23, v173                              // 00000000B2B0: 0B5B5B17
	v_mul_f32_e32 v174, v23, v174                              // 00000000B2B4: 0B5D5D17
	v_mul_f32_e32 v175, v23, v175                              // 00000000B2B8: 0B5F5F17
	v_cvt_i32_f32_e32 v172, v172                               // 00000000B2BC: 7F5811AC
	v_cvt_i32_f32_e32 v173, v173                               // 00000000B2C0: 7F5A11AD
	v_cvt_i32_f32_e32 v174, v174                               // 00000000B2C4: 7F5C11AE
	v_cvt_i32_f32_e32 v175, v175                               // 00000000B2C8: 7F5E11AF
	v_perm_b32 v139, v173, v172, s53                           // 00000000B2CC: D1ED008B 00D759AD
	v_perm_b32 v139, v174, v139, s54                           // 00000000B2D4: D1ED008B 00DB17AE
	v_perm_b32 v139, v175, v139, s55                           // 00000000B2DC: D1ED008B 00DF17AF
	v_mul_f32_e32 v176, v22, v176                              // 00000000B2E4: 0B616116
	v_mul_f32_e32 v177, v22, v177                              // 00000000B2E8: 0B636316
	v_mul_f32_e32 v178, v22, v178                              // 00000000B2EC: 0B656516
	v_mul_f32_e32 v179, v22, v179                              // 00000000B2F0: 0B676716
	v_cvt_i32_f32_e32 v176, v176                               // 00000000B2F4: 7F6011B0
	v_cvt_i32_f32_e32 v177, v177                               // 00000000B2F8: 7F6211B1
	v_cvt_i32_f32_e32 v178, v178                               // 00000000B2FC: 7F6411B2
	v_cvt_i32_f32_e32 v179, v179                               // 00000000B300: 7F6611B3
	v_perm_b32 v140, v177, v176, s53                           // 00000000B304: D1ED008C 00D761B1
	v_perm_b32 v140, v178, v140, s54                           // 00000000B30C: D1ED008C 00DB19B2
	v_perm_b32 v140, v179, v140, s55                           // 00000000B314: D1ED008C 00DF19B3
	v_mul_f32_e32 v180, v23, v180                              // 00000000B31C: 0B696917
	v_mul_f32_e32 v181, v23, v181                              // 00000000B320: 0B6B6B17
	v_mul_f32_e32 v182, v23, v182                              // 00000000B324: 0B6D6D17
	v_mul_f32_e32 v183, v23, v183                              // 00000000B328: 0B6F6F17
	v_cvt_i32_f32_e32 v180, v180                               // 00000000B32C: 7F6811B4
	v_cvt_i32_f32_e32 v181, v181                               // 00000000B330: 7F6A11B5
	v_cvt_i32_f32_e32 v182, v182                               // 00000000B334: 7F6C11B6
	v_cvt_i32_f32_e32 v183, v183                               // 00000000B338: 7F6E11B7
	v_perm_b32 v141, v181, v180, s53                           // 00000000B33C: D1ED008D 00D769B5
	v_perm_b32 v141, v182, v141, s54                           // 00000000B344: D1ED008D 00DB1BB6
	v_perm_b32 v141, v183, v141, s55                           // 00000000B34C: D1ED008D 00DF1BB7
	v_mul_f32_e32 v184, v22, v184                              // 00000000B354: 0B717116
	v_mul_f32_e32 v185, v22, v185                              // 00000000B358: 0B737316
	v_mul_f32_e32 v186, v22, v186                              // 00000000B35C: 0B757516
	v_mul_f32_e32 v187, v22, v187                              // 00000000B360: 0B777716
	v_cvt_i32_f32_e32 v184, v184                               // 00000000B364: 7F7011B8
	v_cvt_i32_f32_e32 v185, v185                               // 00000000B368: 7F7211B9
	v_cvt_i32_f32_e32 v186, v186                               // 00000000B36C: 7F7411BA
	v_cvt_i32_f32_e32 v187, v187                               // 00000000B370: 7F7611BB
	v_perm_b32 v142, v185, v184, s53                           // 00000000B374: D1ED008E 00D771B9
	v_perm_b32 v142, v186, v142, s54                           // 00000000B37C: D1ED008E 00DB1DBA
	v_perm_b32 v142, v187, v142, s55                           // 00000000B384: D1ED008E 00DF1DBB
	v_mul_f32_e32 v188, v23, v188                              // 00000000B38C: 0B797917
	v_mul_f32_e32 v189, v23, v189                              // 00000000B390: 0B7B7B17
	v_mul_f32_e32 v190, v23, v190                              // 00000000B394: 0B7D7D17
	v_mul_f32_e32 v191, v23, v191                              // 00000000B398: 0B7F7F17
	v_cvt_i32_f32_e32 v188, v188                               // 00000000B39C: 7F7811BC
	v_cvt_i32_f32_e32 v189, v189                               // 00000000B3A0: 7F7A11BD
	v_cvt_i32_f32_e32 v190, v190                               // 00000000B3A4: 7F7C11BE
	v_cvt_i32_f32_e32 v191, v191                               // 00000000B3A8: 7F7E11BF
	v_perm_b32 v143, v189, v188, s53                           // 00000000B3AC: D1ED008F 00D779BD
	v_perm_b32 v143, v190, v143, s54                           // 00000000B3B4: D1ED008F 00DB1FBE
	v_perm_b32 v143, v191, v143, s55                           // 00000000B3BC: D1ED008F 00DF1FBF
	v_rcp_f32_e32 v24, v22                                     // 00000000B3C4: 7E304516
	v_rcp_f32_e32 v25, v23                                     // 00000000B3C8: 7E324517
	v_lshrrev_b32_e32 v52, 5, v0                               // 00000000B3CC: 20680085
	v_lshlrev_b32_e32 v53, 5, v52                              // 00000000B3D0: 246A6885
	v_and_b32_e32 v52, 31, v0                                  // 00000000B3D4: 2668009F
	v_lshrrev_b32_e32 v54, 4, v52                              // 00000000B3D8: 206C6884
	v_add_u32_e32 v53, v54, v53                                // 00000000B3DC: 686A6B36
	v_and_b32_e32 v52, 15, v0                                  // 00000000B3E0: 2668008F
	v_lshlrev_b32_e32 v52, 1, v52                              // 00000000B3E4: 24686881
	v_add_u32_e32 v53, v52, v53                                // 00000000B3E8: 686A6B34
	v_lshlrev_b32_e32 v52, 2, v53                              // 00000000B3EC: 24686A82
	s_mul_i32 s60, 0x100, s7                                   // 00000000B3F0: 923C07FF 00000100
	v_add_u32_e64 v52, v52, s60                                // 00000000B3F8: D1340034 00007934
	ds_write_b32 v52, v128 offset:18688                        // 00000000B400: D81A4900 00008034
	ds_write_b32 v52, v129 offset:26880                        // 00000000B408: D81A6900 00008134
	ds_write_b32 v52, v130 offset:19712                        // 00000000B410: D81A4D00 00008234
	ds_write_b32 v52, v131 offset:27904                        // 00000000B418: D81A6D00 00008334
	ds_write_b32 v52, v132 offset:20736                        // 00000000B420: D81A5100 00008434
	ds_write_b32 v52, v133 offset:28928                        // 00000000B428: D81A7100 00008534
	ds_write_b32 v52, v134 offset:21760                        // 00000000B430: D81A5500 00008634
	ds_write_b32 v52, v135 offset:29952                        // 00000000B438: D81A7500 00008734
	ds_write_b32 v52, v136 offset:22784                        // 00000000B440: D81A5900 00008834
	ds_write_b32 v52, v137 offset:30976                        // 00000000B448: D81A7900 00008934
	ds_write_b32 v52, v138 offset:23808                        // 00000000B450: D81A5D00 00008A34
	ds_write_b32 v52, v139 offset:32000                        // 00000000B458: D81A7D00 00008B34
	ds_write_b32 v52, v140 offset:24832                        // 00000000B460: D81A6100 00008C34
	ds_write_b32 v52, v141 offset:33024                        // 00000000B468: D81A8100 00008D34
	ds_write_b32 v52, v142 offset:25856                        // 00000000B470: D81A6500 00008E34
	ds_write_b32 v52, v143 offset:34048                        // 00000000B478: D81A8500 00008F34
	s_waitcnt lgkmcnt(0)                                       // 00000000B480: BF8CC07F
	s_barrier                                                  // 00000000B484: BF8A0000
	v_lshrrev_b32_e32 v52, 4, v0                               // 00000000B488: 20680084
	v_lshlrev_b32_e32 v53, 6, v52                              // 00000000B48C: 246A6886
	v_and_b32_e32 v52, 15, v0                                  // 00000000B490: 2668008F
	v_lshlrev_b32_e32 v52, 1, v52                              // 00000000B494: 24686881
	v_add_u32_e32 v53, v52, v53                                // 00000000B498: 686A6B34
	v_lshlrev_b32_e32 v52, 2, v53                              // 00000000B49C: 24686A82
	ds_read_b64 v[128:129], v52 offset:18688                   // 00000000B4A0: D8EC4900 80000034
	ds_read_b64 v[130:131], v52 offset:18816                   // 00000000B4A8: D8EC4980 82000034
	ds_read_b64 v[132:133], v52 offset:19712                   // 00000000B4B0: D8EC4D00 84000034
	ds_read_b64 v[134:135], v52 offset:19840                   // 00000000B4B8: D8EC4D80 86000034
	ds_read_b64 v[136:137], v52 offset:20736                   // 00000000B4C0: D8EC5100 88000034
	ds_read_b64 v[138:139], v52 offset:20864                   // 00000000B4C8: D8EC5180 8A000034
	ds_read_b64 v[140:141], v52 offset:21760                   // 00000000B4D0: D8EC5500 8C000034
	ds_read_b64 v[142:143], v52 offset:21888                   // 00000000B4D8: D8EC5580 8E000034
	ds_read_b64 v[144:145], v52 offset:22784                   // 00000000B4E0: D8EC5900 90000034
	ds_read_b64 v[146:147], v52 offset:22912                   // 00000000B4E8: D8EC5980 92000034
	ds_read_b64 v[148:149], v52 offset:23808                   // 00000000B4F0: D8EC5D00 94000034
	ds_read_b64 v[150:151], v52 offset:23936                   // 00000000B4F8: D8EC5D80 96000034
	ds_read_b64 v[152:153], v52 offset:24832                   // 00000000B500: D8EC6100 98000034
	ds_read_b64 v[154:155], v52 offset:24960                   // 00000000B508: D8EC6180 9A000034
	ds_read_b64 v[156:157], v52 offset:25856                   // 00000000B510: D8EC6500 9C000034
	ds_read_b64 v[158:159], v52 offset:25984                   // 00000000B518: D8EC6580 9E000034
	ds_read_b64 v[160:161], v52 offset:26880                   // 00000000B520: D8EC6900 A0000034
	ds_read_b64 v[162:163], v52 offset:27008                   // 00000000B528: D8EC6980 A2000034
	ds_read_b64 v[164:165], v52 offset:27904                   // 00000000B530: D8EC6D00 A4000034
	ds_read_b64 v[166:167], v52 offset:28032                   // 00000000B538: D8EC6D80 A6000034
	ds_read_b64 v[168:169], v52 offset:28928                   // 00000000B540: D8EC7100 A8000034
	ds_read_b64 v[170:171], v52 offset:29056                   // 00000000B548: D8EC7180 AA000034
	ds_read_b64 v[172:173], v52 offset:29952                   // 00000000B550: D8EC7500 AC000034
	ds_read_b64 v[174:175], v52 offset:30080                   // 00000000B558: D8EC7580 AE000034
	ds_read_b64 v[176:177], v52 offset:30976                   // 00000000B560: D8EC7900 B0000034
	ds_read_b64 v[178:179], v52 offset:31104                   // 00000000B568: D8EC7980 B2000034
	ds_read_b64 v[180:181], v52 offset:32000                   // 00000000B570: D8EC7D00 B4000034
	ds_read_b64 v[182:183], v52 offset:32128                   // 00000000B578: D8EC7D80 B6000034
	ds_read_b64 v[184:185], v52 offset:33024                   // 00000000B580: D8EC8100 B8000034
	ds_read_b64 v[186:187], v52 offset:33152                   // 00000000B588: D8EC8180 BA000034
	ds_read_b64 v[188:189], v52 offset:34048                   // 00000000B590: D8EC8500 BC000034
	ds_read_b64 v[190:191], v52 offset:34176                   // 00000000B598: D8EC8580 BE000034
	s_add_u32 s12, s56, s12                                    // 00000000B5A0: 800C0C38
	s_addc_u32 s13, 0, s13                                     // 00000000B5A4: 820D0D80
	s_add_u32 s16, s79, s16                                    // 00000000B5A8: 8010104F
	s_addc_u32 s17, 0, s17                                     // 00000000B5AC: 82111180
	s_mov_b32 s80, 0                                           // 00000000B5B0: BED00080
	s_waitcnt vmcnt(0) expcnt(0) lgkmcnt(0)                    // 00000000B5B4: BF8C0000

000000000000b5b8 <label_21EE>:
	s_waitcnt vmcnt(45)                                        // 00000000B5B8: BF8C8F7D
	s_barrier                                                  // 00000000B5BC: BF8A0000
	v_mfma_i32_16x16x32_i8 v[192:195], a[0:1], v[128:129], 0   // 00000000B5C0: D3D700C0 0A030100
	buffer_load_dwordx4 a[128:131], v42, s[12:15], 0 offen     // 00000000B5C8: E05C1000 8083802A
	v_mfma_i32_16x16x32_i8 v[192:195], a[2:3], v[130:131], v[192:195]// 00000000B5D0: D3D700C0 0F030502
	v_mfma_i32_16x16x32_i8 v[196:199], a[0:1], v[160:161], 0   // 00000000B5D8: D3D700C4 0A034100
	v_mfma_i32_16x16x32_i8 v[196:199], a[2:3], v[162:163], v[196:199]// 00000000B5E0: D3D700C4 0F134502
	v_mfma_i32_16x16x32_i8 v[200:203], a[4:5], v[128:129], 0   // 00000000B5E8: D3D700C8 0A030104
	buffer_load_dwordx4 a[132:135], v43, s[12:15], 0 offen     // 00000000B5F0: E05C1000 8083842B
	v_mfma_i32_16x16x32_i8 v[200:203], a[6:7], v[130:131], v[200:203]// 00000000B5F8: D3D700C8 0F230506
	v_mfma_i32_16x16x32_i8 v[204:207], a[4:5], v[160:161], 0   // 00000000B600: D3D700CC 0A034104
	v_mfma_i32_16x16x32_i8 v[204:207], a[6:7], v[162:163], v[204:207]// 00000000B608: D3D700CC 0F334506
	v_mfma_i32_16x16x32_i8 v[208:211], a[8:9], v[128:129], 0   // 00000000B610: D3D700D0 0A030108
	buffer_load_dwordx4 a[136:139], v44, s[12:15], 0 offen     // 00000000B618: E05C1000 8083882C
	v_mfma_i32_16x16x32_i8 v[208:211], a[10:11], v[130:131], v[208:211]// 00000000B620: D3D700D0 0F43050A
	v_mfma_i32_16x16x32_i8 v[212:215], a[8:9], v[160:161], 0   // 00000000B628: D3D700D4 0A034108
	v_mfma_i32_16x16x32_i8 v[212:215], a[10:11], v[162:163], v[212:215]// 00000000B630: D3D700D4 0F53450A
	v_mfma_i32_16x16x32_i8 v[216:219], a[12:13], v[128:129], 0 // 00000000B638: D3D700D8 0A03010C
	buffer_load_dwordx4 a[140:143], v45, s[12:15], 0 offen     // 00000000B640: E05C1000 80838C2D
	s_add_u32 s12, s78, s12                                    // 00000000B648: 800C0C4E
	s_addc_u32 s13, 0, s13                                     // 00000000B64C: 820D0D80
	v_mfma_i32_16x16x32_i8 v[216:219], a[14:15], v[130:131], v[216:219]// 00000000B650: D3D700D8 0F63050E
	v_mfma_i32_16x16x32_i8 v[220:223], a[12:13], v[160:161], 0 // 00000000B658: D3D700DC 0A03410C
	v_mfma_i32_16x16x32_i8 v[220:223], a[14:15], v[162:163], v[220:223]// 00000000B660: D3D700DC 0F73450E
	s_waitcnt vmcnt(45)                                        // 00000000B668: BF8C8F7D
	v_mfma_i32_16x16x32_i8 v[192:195], a[16:17], v[132:133], v[192:195]// 00000000B66C: D3D700C0 0F030910
	buffer_load_dwordx4 a[144:147], v42, s[12:15], 0 offen     // 00000000B674: E05C1000 8083902A
	v_mfma_i32_16x16x32_i8 v[192:195], a[18:19], v[134:135], v[192:195]// 00000000B67C: D3D700C0 0F030D12
	v_mfma_i32_16x16x32_i8 v[196:199], a[16:17], v[164:165], v[196:199]// 00000000B684: D3D700C4 0F134910
	v_mfma_i32_16x16x32_i8 v[196:199], a[18:19], v[166:167], v[196:199]// 00000000B68C: D3D700C4 0F134D12
	v_mfma_i32_16x16x32_i8 v[200:203], a[20:21], v[132:133], v[200:203]// 00000000B694: D3D700C8 0F230914
	buffer_load_dwordx4 a[148:151], v43, s[12:15], 0 offen     // 00000000B69C: E05C1000 8083942B
	v_mfma_i32_16x16x32_i8 v[200:203], a[22:23], v[134:135], v[200:203]// 00000000B6A4: D3D700C8 0F230D16
	v_mfma_i32_16x16x32_i8 v[204:207], a[20:21], v[164:165], v[204:207]// 00000000B6AC: D3D700CC 0F334914
	v_mfma_i32_16x16x32_i8 v[204:207], a[22:23], v[166:167], v[204:207]// 00000000B6B4: D3D700CC 0F334D16
	v_mfma_i32_16x16x32_i8 v[208:211], a[24:25], v[132:133], v[208:211]// 00000000B6BC: D3D700D0 0F430918
	buffer_load_dwordx4 a[152:155], v44, s[12:15], 0 offen     // 00000000B6C4: E05C1000 8083982C
	v_mfma_i32_16x16x32_i8 v[208:211], a[26:27], v[134:135], v[208:211]// 00000000B6CC: D3D700D0 0F430D1A
	v_mfma_i32_16x16x32_i8 v[212:215], a[24:25], v[164:165], v[212:215]// 00000000B6D4: D3D700D4 0F534918
	v_mfma_i32_16x16x32_i8 v[212:215], a[26:27], v[166:167], v[212:215]// 00000000B6DC: D3D700D4 0F534D1A
	v_mfma_i32_16x16x32_i8 v[216:219], a[28:29], v[132:133], v[216:219]// 00000000B6E4: D3D700D8 0F63091C
	buffer_load_dwordx4 a[156:159], v45, s[12:15], 0 offen     // 00000000B6EC: E05C1000 80839C2D
	s_add_u32 s12, s78, s12                                    // 00000000B6F4: 800C0C4E
	s_addc_u32 s13, 0, s13                                     // 00000000B6F8: 820D0D80
	v_mfma_i32_16x16x32_i8 v[216:219], a[30:31], v[134:135], v[216:219]// 00000000B6FC: D3D700D8 0F630D1E
	v_mfma_i32_16x16x32_i8 v[220:223], a[28:29], v[164:165], v[220:223]// 00000000B704: D3D700DC 0F73491C
	v_mfma_i32_16x16x32_i8 v[220:223], a[30:31], v[166:167], v[220:223]// 00000000B70C: D3D700DC 0F734D1E
	s_waitcnt vmcnt(45)                                        // 00000000B714: BF8C8F7D
	v_mfma_i32_16x16x32_i8 v[192:195], a[32:33], v[136:137], v[192:195]// 00000000B718: D3D700C0 0F031120
	buffer_load_dwordx4 a[160:163], v42, s[12:15], 0 offen     // 00000000B720: E05C1000 8083A02A
	v_mfma_i32_16x16x32_i8 v[192:195], a[34:35], v[138:139], v[192:195]// 00000000B728: D3D700C0 0F031522
	v_mfma_i32_16x16x32_i8 v[196:199], a[32:33], v[168:169], v[196:199]// 00000000B730: D3D700C4 0F135120
	v_mfma_i32_16x16x32_i8 v[196:199], a[34:35], v[170:171], v[196:199]// 00000000B738: D3D700C4 0F135522
	v_mfma_i32_16x16x32_i8 v[200:203], a[36:37], v[136:137], v[200:203]// 00000000B740: D3D700C8 0F231124
	buffer_load_dwordx4 a[164:167], v43, s[12:15], 0 offen     // 00000000B748: E05C1000 8083A42B
	v_mfma_i32_16x16x32_i8 v[200:203], a[38:39], v[138:139], v[200:203]// 00000000B750: D3D700C8 0F231526
	v_mfma_i32_16x16x32_i8 v[204:207], a[36:37], v[168:169], v[204:207]// 00000000B758: D3D700CC 0F335124
	v_mfma_i32_16x16x32_i8 v[204:207], a[38:39], v[170:171], v[204:207]// 00000000B760: D3D700CC 0F335526
	v_mfma_i32_16x16x32_i8 v[208:211], a[40:41], v[136:137], v[208:211]// 00000000B768: D3D700D0 0F431128
	buffer_load_dwordx4 a[168:171], v44, s[12:15], 0 offen     // 00000000B770: E05C1000 8083A82C
	v_mfma_i32_16x16x32_i8 v[208:211], a[42:43], v[138:139], v[208:211]// 00000000B778: D3D700D0 0F43152A
	v_mfma_i32_16x16x32_i8 v[212:215], a[40:41], v[168:169], v[212:215]// 00000000B780: D3D700D4 0F535128
	v_mfma_i32_16x16x32_i8 v[212:215], a[42:43], v[170:171], v[212:215]// 00000000B788: D3D700D4 0F53552A
	v_mfma_i32_16x16x32_i8 v[216:219], a[44:45], v[136:137], v[216:219]// 00000000B790: D3D700D8 0F63112C
	buffer_load_dwordx4 a[172:175], v45, s[12:15], 0 offen     // 00000000B798: E05C1000 8083AC2D
	s_add_u32 s12, s78, s12                                    // 00000000B7A0: 800C0C4E
	s_addc_u32 s13, 0, s13                                     // 00000000B7A4: 820D0D80
	v_mfma_i32_16x16x32_i8 v[216:219], a[46:47], v[138:139], v[216:219]// 00000000B7A8: D3D700D8 0F63152E
	v_mfma_i32_16x16x32_i8 v[220:223], a[44:45], v[168:169], v[220:223]// 00000000B7B0: D3D700DC 0F73512C
	v_mfma_i32_16x16x32_i8 v[220:223], a[46:47], v[170:171], v[220:223]// 00000000B7B8: D3D700DC 0F73552E
	s_waitcnt vmcnt(45)                                        // 00000000B7C0: BF8C8F7D
	v_mfma_i32_16x16x32_i8 v[192:195], a[48:49], v[140:141], v[192:195]// 00000000B7C4: D3D700C0 0F031930
	buffer_load_dwordx4 a[176:179], v42, s[12:15], 0 offen     // 00000000B7CC: E05C1000 8083B02A
	v_mfma_i32_16x16x32_i8 v[192:195], a[50:51], v[142:143], v[192:195]// 00000000B7D4: D3D700C0 0F031D32
	v_mfma_i32_16x16x32_i8 v[196:199], a[48:49], v[172:173], v[196:199]// 00000000B7DC: D3D700C4 0F135930
	v_mfma_i32_16x16x32_i8 v[196:199], a[50:51], v[174:175], v[196:199]// 00000000B7E4: D3D700C4 0F135D32
	v_mfma_i32_16x16x32_i8 v[200:203], a[52:53], v[140:141], v[200:203]// 00000000B7EC: D3D700C8 0F231934
	buffer_load_dwordx4 a[180:183], v43, s[12:15], 0 offen     // 00000000B7F4: E05C1000 8083B42B
	v_mfma_i32_16x16x32_i8 v[200:203], a[54:55], v[142:143], v[200:203]// 00000000B7FC: D3D700C8 0F231D36
	v_mfma_i32_16x16x32_i8 v[204:207], a[52:53], v[172:173], v[204:207]// 00000000B804: D3D700CC 0F335934
	v_mfma_i32_16x16x32_i8 v[204:207], a[54:55], v[174:175], v[204:207]// 00000000B80C: D3D700CC 0F335D36
	v_mfma_i32_16x16x32_i8 v[208:211], a[56:57], v[140:141], v[208:211]// 00000000B814: D3D700D0 0F431938
	buffer_load_dwordx4 a[184:187], v44, s[12:15], 0 offen     // 00000000B81C: E05C1000 8083B82C
	v_mfma_i32_16x16x32_i8 v[208:211], a[58:59], v[142:143], v[208:211]// 00000000B824: D3D700D0 0F431D3A
	v_mfma_i32_16x16x32_i8 v[212:215], a[56:57], v[172:173], v[212:215]// 00000000B82C: D3D700D4 0F535938
	v_mfma_i32_16x16x32_i8 v[212:215], a[58:59], v[174:175], v[212:215]// 00000000B834: D3D700D4 0F535D3A
	v_mfma_i32_16x16x32_i8 v[216:219], a[60:61], v[140:141], v[216:219]// 00000000B83C: D3D700D8 0F63193C
	buffer_load_dwordx4 a[188:191], v45, s[12:15], 0 offen     // 00000000B844: E05C1000 8083BC2D
	s_add_u32 s12, s78, s12                                    // 00000000B84C: 800C0C4E
	s_addc_u32 s13, 0, s13                                     // 00000000B850: 820D0D80
	v_mfma_i32_16x16x32_i8 v[216:219], a[62:63], v[142:143], v[216:219]// 00000000B854: D3D700D8 0F631D3E
	v_mfma_i32_16x16x32_i8 v[220:223], a[60:61], v[172:173], v[220:223]// 00000000B85C: D3D700DC 0F73593C
	v_mfma_i32_16x16x32_i8 v[220:223], a[62:63], v[174:175], v[220:223]// 00000000B864: D3D700DC 0F735D3E
	s_waitcnt vmcnt(45)                                        // 00000000B86C: BF8C8F7D
	v_mfma_i32_16x16x32_i8 v[192:195], a[64:65], v[144:145], v[192:195]// 00000000B870: D3D700C0 0F032140
	buffer_load_dwordx4 a[192:195], v42, s[12:15], 0 offen     // 00000000B878: E05C1000 8083C02A
	v_mfma_i32_16x16x32_i8 v[192:195], a[66:67], v[146:147], v[192:195]// 00000000B880: D3D700C0 0F032542
	v_mfma_i32_16x16x32_i8 v[196:199], a[64:65], v[176:177], v[196:199]// 00000000B888: D3D700C4 0F136140
	v_mfma_i32_16x16x32_i8 v[196:199], a[66:67], v[178:179], v[196:199]// 00000000B890: D3D700C4 0F136542
	v_mfma_i32_16x16x32_i8 v[200:203], a[68:69], v[144:145], v[200:203]// 00000000B898: D3D700C8 0F232144
	buffer_load_dwordx4 a[196:199], v43, s[12:15], 0 offen     // 00000000B8A0: E05C1000 8083C42B
	v_mfma_i32_16x16x32_i8 v[200:203], a[70:71], v[146:147], v[200:203]// 00000000B8A8: D3D700C8 0F232546
	v_mfma_i32_16x16x32_i8 v[204:207], a[68:69], v[176:177], v[204:207]// 00000000B8B0: D3D700CC 0F336144
	v_mfma_i32_16x16x32_i8 v[204:207], a[70:71], v[178:179], v[204:207]// 00000000B8B8: D3D700CC 0F336546
	v_mfma_i32_16x16x32_i8 v[208:211], a[72:73], v[144:145], v[208:211]// 00000000B8C0: D3D700D0 0F432148
	buffer_load_dwordx4 a[200:203], v44, s[12:15], 0 offen     // 00000000B8C8: E05C1000 8083C82C
	v_mfma_i32_16x16x32_i8 v[208:211], a[74:75], v[146:147], v[208:211]// 00000000B8D0: D3D700D0 0F43254A
	v_mfma_i32_16x16x32_i8 v[212:215], a[72:73], v[176:177], v[212:215]// 00000000B8D8: D3D700D4 0F536148
	v_mfma_i32_16x16x32_i8 v[212:215], a[74:75], v[178:179], v[212:215]// 00000000B8E0: D3D700D4 0F53654A
	v_mfma_i32_16x16x32_i8 v[216:219], a[76:77], v[144:145], v[216:219]// 00000000B8E8: D3D700D8 0F63214C
	buffer_load_dwordx4 a[204:207], v45, s[12:15], 0 offen     // 00000000B8F0: E05C1000 8083CC2D
	s_add_u32 s12, s78, s12                                    // 00000000B8F8: 800C0C4E
	s_addc_u32 s13, 0, s13                                     // 00000000B8FC: 820D0D80
	v_mfma_i32_16x16x32_i8 v[216:219], a[78:79], v[146:147], v[216:219]// 00000000B900: D3D700D8 0F63254E
	v_mfma_i32_16x16x32_i8 v[220:223], a[76:77], v[176:177], v[220:223]// 00000000B908: D3D700DC 0F73614C
	v_mfma_i32_16x16x32_i8 v[220:223], a[78:79], v[178:179], v[220:223]// 00000000B910: D3D700DC 0F73654E
	s_waitcnt vmcnt(45)                                        // 00000000B918: BF8C8F7D
	v_mfma_i32_16x16x32_i8 v[192:195], a[80:81], v[148:149], v[192:195]// 00000000B91C: D3D700C0 0F032950
	buffer_load_dwordx4 a[208:211], v42, s[12:15], 0 offen     // 00000000B924: E05C1000 8083D02A
	v_mfma_i32_16x16x32_i8 v[192:195], a[82:83], v[150:151], v[192:195]// 00000000B92C: D3D700C0 0F032D52
	v_mfma_i32_16x16x32_i8 v[196:199], a[80:81], v[180:181], v[196:199]// 00000000B934: D3D700C4 0F136950
	v_mfma_i32_16x16x32_i8 v[196:199], a[82:83], v[182:183], v[196:199]// 00000000B93C: D3D700C4 0F136D52
	v_mfma_i32_16x16x32_i8 v[200:203], a[84:85], v[148:149], v[200:203]// 00000000B944: D3D700C8 0F232954
	buffer_load_dwordx4 a[212:215], v43, s[12:15], 0 offen     // 00000000B94C: E05C1000 8083D42B
	v_mfma_i32_16x16x32_i8 v[200:203], a[86:87], v[150:151], v[200:203]// 00000000B954: D3D700C8 0F232D56
	v_mfma_i32_16x16x32_i8 v[204:207], a[84:85], v[180:181], v[204:207]// 00000000B95C: D3D700CC 0F336954
	v_mfma_i32_16x16x32_i8 v[204:207], a[86:87], v[182:183], v[204:207]// 00000000B964: D3D700CC 0F336D56
	v_mfma_i32_16x16x32_i8 v[208:211], a[88:89], v[148:149], v[208:211]// 00000000B96C: D3D700D0 0F432958
	buffer_load_dwordx4 a[216:219], v44, s[12:15], 0 offen     // 00000000B974: E05C1000 8083D82C
	v_mfma_i32_16x16x32_i8 v[208:211], a[90:91], v[150:151], v[208:211]// 00000000B97C: D3D700D0 0F432D5A
	v_mfma_i32_16x16x32_i8 v[212:215], a[88:89], v[180:181], v[212:215]// 00000000B984: D3D700D4 0F536958
	v_mfma_i32_16x16x32_i8 v[212:215], a[90:91], v[182:183], v[212:215]// 00000000B98C: D3D700D4 0F536D5A
	v_mfma_i32_16x16x32_i8 v[216:219], a[92:93], v[148:149], v[216:219]// 00000000B994: D3D700D8 0F63295C
	buffer_load_dwordx4 a[220:223], v45, s[12:15], 0 offen     // 00000000B99C: E05C1000 8083DC2D
	s_add_u32 s12, s78, s12                                    // 00000000B9A4: 800C0C4E
	s_addc_u32 s13, 0, s13                                     // 00000000B9A8: 820D0D80
	v_mfma_i32_16x16x32_i8 v[216:219], a[94:95], v[150:151], v[216:219]// 00000000B9AC: D3D700D8 0F632D5E
	v_mfma_i32_16x16x32_i8 v[220:223], a[92:93], v[180:181], v[220:223]// 00000000B9B4: D3D700DC 0F73695C
	v_mfma_i32_16x16x32_i8 v[220:223], a[94:95], v[182:183], v[220:223]// 00000000B9BC: D3D700DC 0F736D5E
	s_waitcnt vmcnt(45)                                        // 00000000B9C4: BF8C8F7D
	v_mfma_i32_16x16x32_i8 v[192:195], a[96:97], v[152:153], v[192:195]// 00000000B9C8: D3D700C0 0F033160
	buffer_load_dwordx4 a[224:227], v42, s[12:15], 0 offen     // 00000000B9D0: E05C1000 8083E02A
	v_mfma_i32_16x16x32_i8 v[192:195], a[98:99], v[154:155], v[192:195]// 00000000B9D8: D3D700C0 0F033562
	v_mfma_i32_16x16x32_i8 v[196:199], a[96:97], v[184:185], v[196:199]// 00000000B9E0: D3D700C4 0F137160
	v_mfma_i32_16x16x32_i8 v[196:199], a[98:99], v[186:187], v[196:199]// 00000000B9E8: D3D700C4 0F137562
	v_mfma_i32_16x16x32_i8 v[200:203], a[100:101], v[152:153], v[200:203]// 00000000B9F0: D3D700C8 0F233164
	buffer_load_dwordx4 a[228:231], v43, s[12:15], 0 offen     // 00000000B9F8: E05C1000 8083E42B
	v_mfma_i32_16x16x32_i8 v[200:203], a[102:103], v[154:155], v[200:203]// 00000000BA00: D3D700C8 0F233566
	v_mfma_i32_16x16x32_i8 v[204:207], a[100:101], v[184:185], v[204:207]// 00000000BA08: D3D700CC 0F337164
	v_mfma_i32_16x16x32_i8 v[204:207], a[102:103], v[186:187], v[204:207]// 00000000BA10: D3D700CC 0F337566
	v_mfma_i32_16x16x32_i8 v[208:211], a[104:105], v[152:153], v[208:211]// 00000000BA18: D3D700D0 0F433168
	buffer_load_dwordx4 a[232:235], v44, s[12:15], 0 offen     // 00000000BA20: E05C1000 8083E82C
	v_mfma_i32_16x16x32_i8 v[208:211], a[106:107], v[154:155], v[208:211]// 00000000BA28: D3D700D0 0F43356A
	v_mfma_i32_16x16x32_i8 v[212:215], a[104:105], v[184:185], v[212:215]// 00000000BA30: D3D700D4 0F537168
	v_mfma_i32_16x16x32_i8 v[212:215], a[106:107], v[186:187], v[212:215]// 00000000BA38: D3D700D4 0F53756A
	v_mfma_i32_16x16x32_i8 v[216:219], a[108:109], v[152:153], v[216:219]// 00000000BA40: D3D700D8 0F63316C
	buffer_load_dwordx4 a[236:239], v45, s[12:15], 0 offen     // 00000000BA48: E05C1000 8083EC2D
	s_add_u32 s12, s78, s12                                    // 00000000BA50: 800C0C4E
	s_addc_u32 s13, 0, s13                                     // 00000000BA54: 820D0D80
	v_mfma_i32_16x16x32_i8 v[216:219], a[110:111], v[154:155], v[216:219]// 00000000BA58: D3D700D8 0F63356E
	v_mfma_i32_16x16x32_i8 v[220:223], a[108:109], v[184:185], v[220:223]// 00000000BA60: D3D700DC 0F73716C
	v_mfma_i32_16x16x32_i8 v[220:223], a[110:111], v[186:187], v[220:223]// 00000000BA68: D3D700DC 0F73756E
	s_waitcnt vmcnt(44)                                        // 00000000BA70: BF8C8F7C
	v_mfma_i32_16x16x32_i8 v[192:195], a[112:113], v[156:157], v[192:195]// 00000000BA74: D3D700C0 0F033970
	buffer_load_dwordx4 a[240:243], v42, s[12:15], 0 offen     // 00000000BA7C: E05C1000 8083F02A
	v_mfma_i32_16x16x32_i8 v[192:195], a[114:115], v[158:159], v[192:195]// 00000000BA84: D3D700C0 0F033D72
	v_mfma_i32_16x16x32_i8 v[196:199], a[112:113], v[188:189], v[196:199]// 00000000BA8C: D3D700C4 0F137970
	buffer_load_dword v13, v5, s[16:19], 0 offen               // 00000000BA94: E0501000 80040D05
	v_mfma_i32_16x16x32_i8 v[196:199], a[114:115], v[190:191], v[196:199]// 00000000BA9C: D3D700C4 0F137D72
	v_mfma_i32_16x16x32_i8 v[200:203], a[116:117], v[156:157], v[200:203]// 00000000BAA4: D3D700C8 0F233974
	buffer_load_dwordx4 a[244:247], v43, s[12:15], 0 offen     // 00000000BAAC: E05C1000 8083F42B
	v_mfma_i32_16x16x32_i8 v[200:203], a[118:119], v[158:159], v[200:203]// 00000000BAB4: D3D700C8 0F233D76
	v_mfma_i32_16x16x32_i8 v[204:207], a[116:117], v[188:189], v[204:207]// 00000000BABC: D3D700CC 0F337974
	v_mfma_i32_16x16x32_i8 v[204:207], a[118:119], v[190:191], v[204:207]// 00000000BAC4: D3D700CC 0F337D76
	v_mfma_i32_16x16x32_i8 v[208:211], a[120:121], v[156:157], v[208:211]// 00000000BACC: D3D700D0 0F433978
	buffer_load_dwordx4 a[248:251], v44, s[12:15], 0 offen     // 00000000BAD4: E05C1000 8083F82C
	v_mfma_i32_16x16x32_i8 v[208:211], a[122:123], v[158:159], v[208:211]// 00000000BADC: D3D700D0 0F433D7A
	v_mfma_i32_16x16x32_i8 v[212:215], a[120:121], v[188:189], v[212:215]// 00000000BAE4: D3D700D4 0F537978
	v_mfma_i32_16x16x32_i8 v[212:215], a[122:123], v[190:191], v[212:215]// 00000000BAEC: D3D700D4 0F537D7A
	v_mfma_i32_16x16x32_i8 v[216:219], a[124:125], v[156:157], v[216:219]// 00000000BAF4: D3D700D8 0F63397C
	buffer_load_dwordx4 a[252:255], v45, s[12:15], 0 offen     // 00000000BAFC: E05C1000 8083FC2D
	v_mfma_i32_16x16x32_i8 v[216:219], a[126:127], v[158:159], v[216:219]// 00000000BB04: D3D700D8 0F633D7E
	v_mfma_i32_16x16x32_i8 v[220:223], a[124:125], v[188:189], v[220:223]// 00000000BB0C: D3D700DC 0F73797C
	v_mfma_i32_16x16x32_i8 v[220:223], a[126:127], v[190:191], v[220:223]// 00000000BB14: D3D700DC 0F737D7E
	s_add_u32 s60, 0x200, s80                                  // 00000000BB1C: 803C50FF 00000200
	s_cmp_lt_u32 s60, s81                                      // 00000000BB24: BF0A513C
	s_cselect_b32 s56, s56, 0                                  // 00000000BB28: 85388038
	s_cselect_b32 s78, s78, 0                                  // 00000000BB2C: 854E804E
	s_cselect_b32 s79, s79, 0                                  // 00000000BB30: 854F804F
	s_add_u32 s12, s56, s12                                    // 00000000BB34: 800C0C38
	s_addc_u32 s13, 0, s13                                     // 00000000BB38: 820D0D80
	s_add_u32 s16, s79, s16                                    // 00000000BB3C: 8010104F
	s_addc_u32 s17, 0, s17                                     // 00000000BB40: 82111180
	v_cvt_f32_i32_e32 v192, v192                               // 00000000BB44: 7F800BC0
	v_cvt_f32_i32_e32 v193, v193                               // 00000000BB48: 7F820BC1
	v_cvt_f32_i32_e32 v194, v194                               // 00000000BB4C: 7F840BC2
	v_cvt_f32_i32_e32 v195, v195                               // 00000000BB50: 7F860BC3
	v_mul_f32_e32 v192, v24, v192                              // 00000000BB54: 0B818118
	v_mul_f32_e32 v193, v24, v193                              // 00000000BB58: 0B838318
	v_mul_f32_e32 v194, v24, v194                              // 00000000BB5C: 0B858518
	v_mul_f32_e32 v195, v24, v195                              // 00000000BB60: 0B878718
	v_mul_f32_dpp v192, v12, v192 row_newbcast:0 row_mask:0xf bank_mask:0xf// 00000000BB64: 0B8180FA FF01500C
	v_mul_f32_dpp v193, v12, v193 row_newbcast:1 row_mask:0xf bank_mask:0xf// 00000000BB6C: 0B8382FA FF01510C
	v_mul_f32_dpp v194, v12, v194 row_newbcast:2 row_mask:0xf bank_mask:0xf// 00000000BB74: 0B8584FA FF01520C
	v_mul_f32_dpp v195, v12, v195 row_newbcast:3 row_mask:0xf bank_mask:0xf// 00000000BB7C: 0B8786FA FF01530C
	v_mul_f32_e32 v192, v20, v192                              // 00000000BB84: 0B818114
	v_mul_f32_e32 v193, v20, v193                              // 00000000BB88: 0B838314
	v_mul_f32_e32 v194, v20, v194                              // 00000000BB8C: 0B858514
	v_mul_f32_e32 v195, v20, v195                              // 00000000BB90: 0B878714
	v_cvt_f32_i32_e32 v196, v196                               // 00000000BB94: 7F880BC4
	v_cvt_f32_i32_e32 v197, v197                               // 00000000BB98: 7F8A0BC5
	v_cvt_f32_i32_e32 v198, v198                               // 00000000BB9C: 7F8C0BC6
	v_cvt_f32_i32_e32 v199, v199                               // 00000000BBA0: 7F8E0BC7
	v_mul_f32_e32 v196, v25, v196                              // 00000000BBA4: 0B898919
	v_mul_f32_e32 v197, v25, v197                              // 00000000BBA8: 0B8B8B19
	v_mul_f32_e32 v198, v25, v198                              // 00000000BBAC: 0B8D8D19
	v_mul_f32_e32 v199, v25, v199                              // 00000000BBB0: 0B8F8F19
	v_mul_f32_dpp v196, v12, v196 row_newbcast:0 row_mask:0xf bank_mask:0xf// 00000000BBB4: 0B8988FA FF01500C
	v_mul_f32_dpp v197, v12, v197 row_newbcast:1 row_mask:0xf bank_mask:0xf// 00000000BBBC: 0B8B8AFA FF01510C
	v_mul_f32_dpp v198, v12, v198 row_newbcast:2 row_mask:0xf bank_mask:0xf// 00000000BBC4: 0B8D8CFA FF01520C
	v_mul_f32_dpp v199, v12, v199 row_newbcast:3 row_mask:0xf bank_mask:0xf// 00000000BBCC: 0B8F8EFA FF01530C
	v_mul_f32_e32 v196, v21, v196                              // 00000000BBD4: 0B898915
	v_mul_f32_e32 v197, v21, v197                              // 00000000BBD8: 0B8B8B15
	v_mul_f32_e32 v198, v21, v198                              // 00000000BBDC: 0B8D8D15
	v_mul_f32_e32 v199, v21, v199                              // 00000000BBE0: 0B8F8F15
	v_cvt_f32_i32_e32 v200, v200                               // 00000000BBE4: 7F900BC8
	v_cvt_f32_i32_e32 v201, v201                               // 00000000BBE8: 7F920BC9
	v_cvt_f32_i32_e32 v202, v202                               // 00000000BBEC: 7F940BCA
	v_cvt_f32_i32_e32 v203, v203                               // 00000000BBF0: 7F960BCB
	v_mul_f32_e32 v200, v24, v200                              // 00000000BBF4: 0B919118
	v_mul_f32_e32 v201, v24, v201                              // 00000000BBF8: 0B939318
	v_mul_f32_e32 v202, v24, v202                              // 00000000BBFC: 0B959518
	v_mul_f32_e32 v203, v24, v203                              // 00000000BC00: 0B979718
	v_mul_f32_dpp v200, v12, v200 row_newbcast:4 row_mask:0xf bank_mask:0xf// 00000000BC04: 0B9190FA FF01540C
	v_mul_f32_dpp v201, v12, v201 row_newbcast:5 row_mask:0xf bank_mask:0xf// 00000000BC0C: 0B9392FA FF01550C
	v_mul_f32_dpp v202, v12, v202 row_newbcast:6 row_mask:0xf bank_mask:0xf// 00000000BC14: 0B9594FA FF01560C
	v_mul_f32_dpp v203, v12, v203 row_newbcast:7 row_mask:0xf bank_mask:0xf// 00000000BC1C: 0B9796FA FF01570C
	v_mul_f32_e32 v200, v20, v200                              // 00000000BC24: 0B919114
	v_mul_f32_e32 v201, v20, v201                              // 00000000BC28: 0B939314
	v_mul_f32_e32 v202, v20, v202                              // 00000000BC2C: 0B959514
	v_mul_f32_e32 v203, v20, v203                              // 00000000BC30: 0B979714
	v_cvt_f32_i32_e32 v204, v204                               // 00000000BC34: 7F980BCC
	v_cvt_f32_i32_e32 v205, v205                               // 00000000BC38: 7F9A0BCD
	v_cvt_f32_i32_e32 v206, v206                               // 00000000BC3C: 7F9C0BCE
	v_cvt_f32_i32_e32 v207, v207                               // 00000000BC40: 7F9E0BCF
	v_mul_f32_e32 v204, v25, v204                              // 00000000BC44: 0B999919
	v_mul_f32_e32 v205, v25, v205                              // 00000000BC48: 0B9B9B19
	v_mul_f32_e32 v206, v25, v206                              // 00000000BC4C: 0B9D9D19
	v_mul_f32_e32 v207, v25, v207                              // 00000000BC50: 0B9F9F19
	v_mul_f32_dpp v204, v12, v204 row_newbcast:4 row_mask:0xf bank_mask:0xf// 00000000BC54: 0B9998FA FF01540C
	v_mul_f32_dpp v205, v12, v205 row_newbcast:5 row_mask:0xf bank_mask:0xf// 00000000BC5C: 0B9B9AFA FF01550C
	v_mul_f32_dpp v206, v12, v206 row_newbcast:6 row_mask:0xf bank_mask:0xf// 00000000BC64: 0B9D9CFA FF01560C
	v_mul_f32_dpp v207, v12, v207 row_newbcast:7 row_mask:0xf bank_mask:0xf// 00000000BC6C: 0B9F9EFA FF01570C
	v_mul_f32_e32 v204, v21, v204                              // 00000000BC74: 0B999915
	v_mul_f32_e32 v205, v21, v205                              // 00000000BC78: 0B9B9B15
	v_mul_f32_e32 v206, v21, v206                              // 00000000BC7C: 0B9D9D15
	v_mul_f32_e32 v207, v21, v207                              // 00000000BC80: 0B9F9F15
	v_cvt_f32_i32_e32 v208, v208                               // 00000000BC84: 7FA00BD0
	v_cvt_f32_i32_e32 v209, v209                               // 00000000BC88: 7FA20BD1
	v_cvt_f32_i32_e32 v210, v210                               // 00000000BC8C: 7FA40BD2
	v_cvt_f32_i32_e32 v211, v211                               // 00000000BC90: 7FA60BD3
	v_mul_f32_e32 v208, v24, v208                              // 00000000BC94: 0BA1A118
	v_mul_f32_e32 v209, v24, v209                              // 00000000BC98: 0BA3A318
	v_mul_f32_e32 v210, v24, v210                              // 00000000BC9C: 0BA5A518
	v_mul_f32_e32 v211, v24, v211                              // 00000000BCA0: 0BA7A718
	v_mul_f32_dpp v208, v12, v208 row_newbcast:8 row_mask:0xf bank_mask:0xf// 00000000BCA4: 0BA1A0FA FF01580C
	v_mul_f32_dpp v209, v12, v209 row_newbcast:9 row_mask:0xf bank_mask:0xf// 00000000BCAC: 0BA3A2FA FF01590C
	v_mul_f32_dpp v210, v12, v210 row_newbcast:10 row_mask:0xf bank_mask:0xf// 00000000BCB4: 0BA5A4FA FF015A0C
	v_mul_f32_dpp v211, v12, v211 row_newbcast:11 row_mask:0xf bank_mask:0xf// 00000000BCBC: 0BA7A6FA FF015B0C
	v_mul_f32_e32 v208, v20, v208                              // 00000000BCC4: 0BA1A114
	v_mul_f32_e32 v209, v20, v209                              // 00000000BCC8: 0BA3A314
	v_mul_f32_e32 v210, v20, v210                              // 00000000BCCC: 0BA5A514
	v_mul_f32_e32 v211, v20, v211                              // 00000000BCD0: 0BA7A714
	v_cvt_f32_i32_e32 v212, v212                               // 00000000BCD4: 7FA80BD4
	v_cvt_f32_i32_e32 v213, v213                               // 00000000BCD8: 7FAA0BD5
	v_cvt_f32_i32_e32 v214, v214                               // 00000000BCDC: 7FAC0BD6
	v_cvt_f32_i32_e32 v215, v215                               // 00000000BCE0: 7FAE0BD7
	v_mul_f32_e32 v212, v25, v212                              // 00000000BCE4: 0BA9A919
	v_mul_f32_e32 v213, v25, v213                              // 00000000BCE8: 0BABAB19
	v_mul_f32_e32 v214, v25, v214                              // 00000000BCEC: 0BADAD19
	v_mul_f32_e32 v215, v25, v215                              // 00000000BCF0: 0BAFAF19
	v_mul_f32_dpp v212, v12, v212 row_newbcast:8 row_mask:0xf bank_mask:0xf// 00000000BCF4: 0BA9A8FA FF01580C
	v_mul_f32_dpp v213, v12, v213 row_newbcast:9 row_mask:0xf bank_mask:0xf// 00000000BCFC: 0BABAAFA FF01590C
	v_mul_f32_dpp v214, v12, v214 row_newbcast:10 row_mask:0xf bank_mask:0xf// 00000000BD04: 0BADACFA FF015A0C
	v_mul_f32_dpp v215, v12, v215 row_newbcast:11 row_mask:0xf bank_mask:0xf// 00000000BD0C: 0BAFAEFA FF015B0C
	v_mul_f32_e32 v212, v21, v212                              // 00000000BD14: 0BA9A915
	v_mul_f32_e32 v213, v21, v213                              // 00000000BD18: 0BABAB15
	v_mul_f32_e32 v214, v21, v214                              // 00000000BD1C: 0BADAD15
	v_mul_f32_e32 v215, v21, v215                              // 00000000BD20: 0BAFAF15
	v_cvt_f32_i32_e32 v216, v216                               // 00000000BD24: 7FB00BD8
	v_cvt_f32_i32_e32 v217, v217                               // 00000000BD28: 7FB20BD9
	v_cvt_f32_i32_e32 v218, v218                               // 00000000BD2C: 7FB40BDA
	v_cvt_f32_i32_e32 v219, v219                               // 00000000BD30: 7FB60BDB
	v_mul_f32_e32 v216, v24, v216                              // 00000000BD34: 0BB1B118
	v_mul_f32_e32 v217, v24, v217                              // 00000000BD38: 0BB3B318
	v_mul_f32_e32 v218, v24, v218                              // 00000000BD3C: 0BB5B518
	v_mul_f32_e32 v219, v24, v219                              // 00000000BD40: 0BB7B718
	v_mul_f32_dpp v216, v12, v216 row_newbcast:12 row_mask:0xf bank_mask:0xf// 00000000BD44: 0BB1B0FA FF015C0C
	v_mul_f32_dpp v217, v12, v217 row_newbcast:13 row_mask:0xf bank_mask:0xf// 00000000BD4C: 0BB3B2FA FF015D0C
	v_mul_f32_dpp v218, v12, v218 row_newbcast:14 row_mask:0xf bank_mask:0xf// 00000000BD54: 0BB5B4FA FF015E0C
	v_mul_f32_dpp v219, v12, v219 row_newbcast:15 row_mask:0xf bank_mask:0xf// 00000000BD5C: 0BB7B6FA FF015F0C
	v_mul_f32_e32 v216, v20, v216                              // 00000000BD64: 0BB1B114
	v_mul_f32_e32 v217, v20, v217                              // 00000000BD68: 0BB3B314
	v_mul_f32_e32 v218, v20, v218                              // 00000000BD6C: 0BB5B514
	v_mul_f32_e32 v219, v20, v219                              // 00000000BD70: 0BB7B714
	v_cvt_f32_i32_e32 v220, v220                               // 00000000BD74: 7FB80BDC
	v_cvt_f32_i32_e32 v221, v221                               // 00000000BD78: 7FBA0BDD
	v_cvt_f32_i32_e32 v222, v222                               // 00000000BD7C: 7FBC0BDE
	v_cvt_f32_i32_e32 v223, v223                               // 00000000BD80: 7FBE0BDF
	v_mul_f32_e32 v220, v25, v220                              // 00000000BD84: 0BB9B919
	v_mul_f32_e32 v221, v25, v221                              // 00000000BD88: 0BBBBB19
	v_mul_f32_e32 v222, v25, v222                              // 00000000BD8C: 0BBDBD19
	v_mul_f32_e32 v223, v25, v223                              // 00000000BD90: 0BBFBF19
	v_mul_f32_dpp v220, v12, v220 row_newbcast:12 row_mask:0xf bank_mask:0xf// 00000000BD94: 0BB9B8FA FF015C0C
	v_mul_f32_dpp v221, v12, v221 row_newbcast:13 row_mask:0xf bank_mask:0xf// 00000000BD9C: 0BBBBAFA FF015D0C
	v_mul_f32_dpp v222, v12, v222 row_newbcast:14 row_mask:0xf bank_mask:0xf// 00000000BDA4: 0BBDBCFA FF015E0C
	v_mul_f32_dpp v223, v12, v223 row_newbcast:15 row_mask:0xf bank_mask:0xf// 00000000BDAC: 0BBFBEFA FF015F0C
	v_mul_f32_e32 v220, v21, v220                              // 00000000BDB4: 0BB9B915
	v_mul_f32_e32 v221, v21, v221                              // 00000000BDB8: 0BBBBB15
	v_mul_f32_e32 v222, v21, v222                              // 00000000BDBC: 0BBDBD15
	v_mul_f32_e32 v223, v21, v223                              // 00000000BDC0: 0BBFBF15
	v_cmp_u_f32_e64 s[48:49], v192, v192                       // 00000000BDC4: D0480030 000381C0
	v_add3_u32 v46, v192, v49, 1                               // 00000000BDCC: D1FF002E 020663C0
	v_cndmask_b32_e64 v52, v46, v48, s[48:49]                  // 00000000BDD4: D1000034 00C2612E
	v_cmp_u_f32_e64 s[48:49], v193, v193                       // 00000000BDDC: D0480030 000383C1
	v_add3_u32 v46, v193, v49, 1                               // 00000000BDE4: D1FF002E 020663C1
	v_cndmask_b32_e64 v53, v46, v48, s[48:49]                  // 00000000BDEC: D1000035 00C2612E
	v_perm_b32 v192, v53, v52, s52                             // 00000000BDF4: D1ED00C0 00D26935
	v_cmp_u_f32_e64 s[48:49], v194, v194                       // 00000000BDFC: D0480030 000385C2
	v_add3_u32 v46, v194, v49, 1                               // 00000000BE04: D1FF002E 020663C2
	v_cndmask_b32_e64 v52, v46, v48, s[48:49]                  // 00000000BE0C: D1000034 00C2612E
	v_cmp_u_f32_e64 s[48:49], v195, v195                       // 00000000BE14: D0480030 000387C3
	v_add3_u32 v46, v195, v49, 1                               // 00000000BE1C: D1FF002E 020663C3
	v_cndmask_b32_e64 v53, v46, v48, s[48:49]                  // 00000000BE24: D1000035 00C2612E
	v_perm_b32 v193, v53, v52, s52                             // 00000000BE2C: D1ED00C1 00D26935
	v_cmp_u_f32_e64 s[48:49], v196, v196                       // 00000000BE34: D0480030 000389C4
	v_add3_u32 v46, v196, v49, 1                               // 00000000BE3C: D1FF002E 020663C4
	v_cndmask_b32_e64 v52, v46, v48, s[48:49]                  // 00000000BE44: D1000034 00C2612E
	v_cmp_u_f32_e64 s[48:49], v197, v197                       // 00000000BE4C: D0480030 00038BC5
	v_add3_u32 v46, v197, v49, 1                               // 00000000BE54: D1FF002E 020663C5
	v_cndmask_b32_e64 v53, v46, v48, s[48:49]                  // 00000000BE5C: D1000035 00C2612E
	v_perm_b32 v194, v53, v52, s52                             // 00000000BE64: D1ED00C2 00D26935
	v_cmp_u_f32_e64 s[48:49], v198, v198                       // 00000000BE6C: D0480030 00038DC6
	v_add3_u32 v46, v198, v49, 1                               // 00000000BE74: D1FF002E 020663C6
	v_cndmask_b32_e64 v52, v46, v48, s[48:49]                  // 00000000BE7C: D1000034 00C2612E
	v_cmp_u_f32_e64 s[48:49], v199, v199                       // 00000000BE84: D0480030 00038FC7
	v_add3_u32 v46, v199, v49, 1                               // 00000000BE8C: D1FF002E 020663C7
	v_cndmask_b32_e64 v53, v46, v48, s[48:49]                  // 00000000BE94: D1000035 00C2612E
	v_perm_b32 v195, v53, v52, s52                             // 00000000BE9C: D1ED00C3 00D26935
	v_cmp_u_f32_e64 s[48:49], v200, v200                       // 00000000BEA4: D0480030 000391C8
	v_add3_u32 v46, v200, v49, 1                               // 00000000BEAC: D1FF002E 020663C8
	v_cndmask_b32_e64 v52, v46, v48, s[48:49]                  // 00000000BEB4: D1000034 00C2612E
	v_cmp_u_f32_e64 s[48:49], v201, v201                       // 00000000BEBC: D0480030 000393C9
	v_add3_u32 v46, v201, v49, 1                               // 00000000BEC4: D1FF002E 020663C9
	v_cndmask_b32_e64 v53, v46, v48, s[48:49]                  // 00000000BECC: D1000035 00C2612E
	v_perm_b32 v196, v53, v52, s52                             // 00000000BED4: D1ED00C4 00D26935
	v_cmp_u_f32_e64 s[48:49], v202, v202                       // 00000000BEDC: D0480030 000395CA
	v_add3_u32 v46, v202, v49, 1                               // 00000000BEE4: D1FF002E 020663CA
	v_cndmask_b32_e64 v52, v46, v48, s[48:49]                  // 00000000BEEC: D1000034 00C2612E
	v_cmp_u_f32_e64 s[48:49], v203, v203                       // 00000000BEF4: D0480030 000397CB
	v_add3_u32 v46, v203, v49, 1                               // 00000000BEFC: D1FF002E 020663CB
	v_cndmask_b32_e64 v53, v46, v48, s[48:49]                  // 00000000BF04: D1000035 00C2612E
	v_perm_b32 v197, v53, v52, s52                             // 00000000BF0C: D1ED00C5 00D26935
	v_cmp_u_f32_e64 s[48:49], v204, v204                       // 00000000BF14: D0480030 000399CC
	v_add3_u32 v46, v204, v49, 1                               // 00000000BF1C: D1FF002E 020663CC
	v_cndmask_b32_e64 v52, v46, v48, s[48:49]                  // 00000000BF24: D1000034 00C2612E
	v_cmp_u_f32_e64 s[48:49], v205, v205                       // 00000000BF2C: D0480030 00039BCD
	v_add3_u32 v46, v205, v49, 1                               // 00000000BF34: D1FF002E 020663CD
	v_cndmask_b32_e64 v53, v46, v48, s[48:49]                  // 00000000BF3C: D1000035 00C2612E
	v_perm_b32 v198, v53, v52, s52                             // 00000000BF44: D1ED00C6 00D26935
	v_cmp_u_f32_e64 s[48:49], v206, v206                       // 00000000BF4C: D0480030 00039DCE
	v_add3_u32 v46, v206, v49, 1                               // 00000000BF54: D1FF002E 020663CE
	v_cndmask_b32_e64 v52, v46, v48, s[48:49]                  // 00000000BF5C: D1000034 00C2612E
	v_cmp_u_f32_e64 s[48:49], v207, v207                       // 00000000BF64: D0480030 00039FCF
	v_add3_u32 v46, v207, v49, 1                               // 00000000BF6C: D1FF002E 020663CF
	v_cndmask_b32_e64 v53, v46, v48, s[48:49]                  // 00000000BF74: D1000035 00C2612E
	v_perm_b32 v199, v53, v52, s52                             // 00000000BF7C: D1ED00C7 00D26935
	v_cmp_u_f32_e64 s[48:49], v208, v208                       // 00000000BF84: D0480030 0003A1D0
	v_add3_u32 v46, v208, v49, 1                               // 00000000BF8C: D1FF002E 020663D0
	v_cndmask_b32_e64 v52, v46, v48, s[48:49]                  // 00000000BF94: D1000034 00C2612E
	v_cmp_u_f32_e64 s[48:49], v209, v209                       // 00000000BF9C: D0480030 0003A3D1
	v_add3_u32 v46, v209, v49, 1                               // 00000000BFA4: D1FF002E 020663D1
	v_cndmask_b32_e64 v53, v46, v48, s[48:49]                  // 00000000BFAC: D1000035 00C2612E
	v_perm_b32 v200, v53, v52, s52                             // 00000000BFB4: D1ED00C8 00D26935
	v_cmp_u_f32_e64 s[48:49], v210, v210                       // 00000000BFBC: D0480030 0003A5D2
	v_add3_u32 v46, v210, v49, 1                               // 00000000BFC4: D1FF002E 020663D2
	v_cndmask_b32_e64 v52, v46, v48, s[48:49]                  // 00000000BFCC: D1000034 00C2612E
	v_cmp_u_f32_e64 s[48:49], v211, v211                       // 00000000BFD4: D0480030 0003A7D3
	v_add3_u32 v46, v211, v49, 1                               // 00000000BFDC: D1FF002E 020663D3
	v_cndmask_b32_e64 v53, v46, v48, s[48:49]                  // 00000000BFE4: D1000035 00C2612E
	v_perm_b32 v201, v53, v52, s52                             // 00000000BFEC: D1ED00C9 00D26935
	v_cmp_u_f32_e64 s[48:49], v212, v212                       // 00000000BFF4: D0480030 0003A9D4
	v_add3_u32 v46, v212, v49, 1                               // 00000000BFFC: D1FF002E 020663D4
	v_cndmask_b32_e64 v52, v46, v48, s[48:49]                  // 00000000C004: D1000034 00C2612E
	v_cmp_u_f32_e64 s[48:49], v213, v213                       // 00000000C00C: D0480030 0003ABD5
	v_add3_u32 v46, v213, v49, 1                               // 00000000C014: D1FF002E 020663D5
	v_cndmask_b32_e64 v53, v46, v48, s[48:49]                  // 00000000C01C: D1000035 00C2612E
	v_perm_b32 v202, v53, v52, s52                             // 00000000C024: D1ED00CA 00D26935
	v_cmp_u_f32_e64 s[48:49], v214, v214                       // 00000000C02C: D0480030 0003ADD6
	v_add3_u32 v46, v214, v49, 1                               // 00000000C034: D1FF002E 020663D6
	v_cndmask_b32_e64 v52, v46, v48, s[48:49]                  // 00000000C03C: D1000034 00C2612E
	v_cmp_u_f32_e64 s[48:49], v215, v215                       // 00000000C044: D0480030 0003AFD7
	v_add3_u32 v46, v215, v49, 1                               // 00000000C04C: D1FF002E 020663D7
	v_cndmask_b32_e64 v53, v46, v48, s[48:49]                  // 00000000C054: D1000035 00C2612E
	v_perm_b32 v203, v53, v52, s52                             // 00000000C05C: D1ED00CB 00D26935
	v_cmp_u_f32_e64 s[48:49], v216, v216                       // 00000000C064: D0480030 0003B1D8
	v_add3_u32 v46, v216, v49, 1                               // 00000000C06C: D1FF002E 020663D8
	v_cndmask_b32_e64 v52, v46, v48, s[48:49]                  // 00000000C074: D1000034 00C2612E
	v_cmp_u_f32_e64 s[48:49], v217, v217                       // 00000000C07C: D0480030 0003B3D9
	v_add3_u32 v46, v217, v49, 1                               // 00000000C084: D1FF002E 020663D9
	v_cndmask_b32_e64 v53, v46, v48, s[48:49]                  // 00000000C08C: D1000035 00C2612E
	v_perm_b32 v204, v53, v52, s52                             // 00000000C094: D1ED00CC 00D26935
	v_cmp_u_f32_e64 s[48:49], v218, v218                       // 00000000C09C: D0480030 0003B5DA
	v_add3_u32 v46, v218, v49, 1                               // 00000000C0A4: D1FF002E 020663DA
	v_cndmask_b32_e64 v52, v46, v48, s[48:49]                  // 00000000C0AC: D1000034 00C2612E
	v_cmp_u_f32_e64 s[48:49], v219, v219                       // 00000000C0B4: D0480030 0003B7DB
	v_add3_u32 v46, v219, v49, 1                               // 00000000C0BC: D1FF002E 020663DB
	v_cndmask_b32_e64 v53, v46, v48, s[48:49]                  // 00000000C0C4: D1000035 00C2612E
	v_perm_b32 v205, v53, v52, s52                             // 00000000C0CC: D1ED00CD 00D26935
	v_cmp_u_f32_e64 s[48:49], v220, v220                       // 00000000C0D4: D0480030 0003B9DC
	v_add3_u32 v46, v220, v49, 1                               // 00000000C0DC: D1FF002E 020663DC
	v_cndmask_b32_e64 v52, v46, v48, s[48:49]                  // 00000000C0E4: D1000034 00C2612E
	v_cmp_u_f32_e64 s[48:49], v221, v221                       // 00000000C0EC: D0480030 0003BBDD
	v_add3_u32 v46, v221, v49, 1                               // 00000000C0F4: D1FF002E 020663DD
	v_cndmask_b32_e64 v53, v46, v48, s[48:49]                  // 00000000C0FC: D1000035 00C2612E
	v_perm_b32 v206, v53, v52, s52                             // 00000000C104: D1ED00CE 00D26935
	v_cmp_u_f32_e64 s[48:49], v222, v222                       // 00000000C10C: D0480030 0003BDDE
	v_add3_u32 v46, v222, v49, 1                               // 00000000C114: D1FF002E 020663DE
	v_cndmask_b32_e64 v52, v46, v48, s[48:49]                  // 00000000C11C: D1000034 00C2612E
	v_cmp_u_f32_e64 s[48:49], v223, v223                       // 00000000C124: D0480030 0003BFDF
	v_add3_u32 v46, v223, v49, 1                               // 00000000C12C: D1FF002E 020663DF
	v_cndmask_b32_e64 v53, v46, v48, s[48:49]                  // 00000000C134: D1000035 00C2612E
	v_perm_b32 v207, v53, v52, s52                             // 00000000C13C: D1ED00CF 00D26935
	ds_write_b64 v3, v[192:193] offset:35072                   // 00000000C144: D89A8900 0000C003
	ds_write_b64 v3, v[194:195] offset:43776                   // 00000000C14C: D89AAB00 0000C203
	ds_write_b64 v3, v[196:197] offset:37248                   // 00000000C154: D89A9180 0000C403
	ds_write_b64 v3, v[198:199] offset:45952                   // 00000000C15C: D89AB380 0000C603
	ds_write_b64 v3, v[200:201] offset:39424                   // 00000000C164: D89A9A00 0000C803
	ds_write_b64 v3, v[202:203] offset:48128                   // 00000000C16C: D89ABC00 0000CA03
	ds_write_b64 v3, v[204:205] offset:41600                   // 00000000C174: D89AA280 0000CC03
	ds_write_b64 v3, v[206:207] offset:50304                   // 00000000C17C: D89AC480 0000CE03
	s_waitcnt lgkmcnt(0)                                       // 00000000C184: BF8CC07F
	s_barrier                                                  // 00000000C188: BF8A0000
	ds_read_b32 v64, v4 offset:35072                           // 00000000C18C: D86C8900 40000004
	ds_read_b32 v65, v4 offset:39424                           // 00000000C194: D86C9A00 41000004
	ds_read_b32 v66, v4 offset:35104                           // 00000000C19C: D86C8920 42000004
	ds_read_b32 v67, v4 offset:39456                           // 00000000C1A4: D86C9A20 43000004
	ds_read_b32 v68, v4 offset:35136                           // 00000000C1AC: D86C8940 44000004
	ds_read_b32 v69, v4 offset:39488                           // 00000000C1B4: D86C9A40 45000004
	ds_read_b32 v70, v4 offset:35168                           // 00000000C1BC: D86C8960 46000004
	ds_read_b32 v71, v4 offset:39520                           // 00000000C1C4: D86C9A60 47000004
	ds_read_b32 v72, v4 offset:43776                           // 00000000C1CC: D86CAB00 48000004
	ds_read_b32 v73, v4 offset:48128                           // 00000000C1D4: D86CBC00 49000004
	ds_read_b32 v74, v4 offset:43808                           // 00000000C1DC: D86CAB20 4A000004
	ds_read_b32 v75, v4 offset:48160                           // 00000000C1E4: D86CBC20 4B000004
	ds_read_b32 v76, v4 offset:43840                           // 00000000C1EC: D86CAB40 4C000004
	ds_read_b32 v77, v4 offset:48192                           // 00000000C1F4: D86CBC40 4D000004
	ds_read_b32 v78, v4 offset:43872                           // 00000000C1FC: D86CAB60 4E000004
	ds_read_b32 v79, v4 offset:48224                           // 00000000C204: D86CBC60 4F000004
	s_waitcnt lgkmcnt(0)                                       // 00000000C20C: BF8CC07F
	s_mov_b64 exec, s[20:21]                                   // 00000000C210: BEFE0114
	global_atomic_pk_add_bf16 v80, v64, s[8:9]                 // 00000000C214: DD488000 00084050
	s_mov_b64 exec, s[36:37]                                   // 00000000C21C: BEFE0124
	s_mov_b64 exec, s[20:21]                                   // 00000000C220: BEFE0114
	global_atomic_pk_add_bf16 v80, v65, s[8:9] offset:256      // 00000000C224: DD488100 00084150
	s_mov_b64 exec, s[36:37]                                   // 00000000C22C: BEFE0124
	s_mov_b64 exec, s[22:23]                                   // 00000000C230: BEFE0116
	global_atomic_pk_add_bf16 v82, v66, s[8:9]                 // 00000000C234: DD488000 00084252
	s_mov_b64 exec, s[36:37]                                   // 00000000C23C: BEFE0124
	s_mov_b64 exec, s[22:23]                                   // 00000000C240: BEFE0116
	global_atomic_pk_add_bf16 v82, v67, s[8:9] offset:256      // 00000000C244: DD488100 00084352
	s_mov_b64 exec, s[36:37]                                   // 00000000C24C: BEFE0124
	s_mov_b64 exec, s[24:25]                                   // 00000000C250: BEFE0118
	global_atomic_pk_add_bf16 v84, v68, s[8:9]                 // 00000000C254: DD488000 00084454
	s_mov_b64 exec, s[36:37]                                   // 00000000C25C: BEFE0124
	s_mov_b64 exec, s[24:25]                                   // 00000000C260: BEFE0118
	global_atomic_pk_add_bf16 v84, v69, s[8:9] offset:256      // 00000000C264: DD488100 00084554
	s_mov_b64 exec, s[36:37]                                   // 00000000C26C: BEFE0124
	s_mov_b64 exec, s[26:27]                                   // 00000000C270: BEFE011A
	global_atomic_pk_add_bf16 v86, v70, s[8:9]                 // 00000000C274: DD488000 00084656
	s_mov_b64 exec, s[36:37]                                   // 00000000C27C: BEFE0124
	s_mov_b64 exec, s[26:27]                                   // 00000000C280: BEFE011A
	global_atomic_pk_add_bf16 v86, v71, s[8:9] offset:256      // 00000000C284: DD488100 00084756
	s_mov_b64 exec, s[36:37]                                   // 00000000C28C: BEFE0124
	s_mov_b64 exec, s[28:29]                                   // 00000000C290: BEFE011C
	global_atomic_pk_add_bf16 v88, v72, s[8:9]                 // 00000000C294: DD488000 00084858
	s_mov_b64 exec, s[36:37]                                   // 00000000C29C: BEFE0124
	s_mov_b64 exec, s[28:29]                                   // 00000000C2A0: BEFE011C
	global_atomic_pk_add_bf16 v88, v73, s[8:9] offset:256      // 00000000C2A4: DD488100 00084958
	s_mov_b64 exec, s[36:37]                                   // 00000000C2AC: BEFE0124
	s_mov_b64 exec, s[30:31]                                   // 00000000C2B0: BEFE011E
	global_atomic_pk_add_bf16 v90, v74, s[8:9]                 // 00000000C2B4: DD488000 00084A5A
	s_mov_b64 exec, s[36:37]                                   // 00000000C2BC: BEFE0124
	s_mov_b64 exec, s[30:31]                                   // 00000000C2C0: BEFE011E
	global_atomic_pk_add_bf16 v90, v75, s[8:9] offset:256      // 00000000C2C4: DD488100 00084B5A
	s_mov_b64 exec, s[36:37]                                   // 00000000C2CC: BEFE0124
	s_mov_b64 exec, s[32:33]                                   // 00000000C2D0: BEFE0120
	global_atomic_pk_add_bf16 v92, v76, s[8:9]                 // 00000000C2D4: DD488000 00084C5C
	s_mov_b64 exec, s[36:37]                                   // 00000000C2DC: BEFE0124
	s_mov_b64 exec, s[32:33]                                   // 00000000C2E0: BEFE0120
	global_atomic_pk_add_bf16 v92, v77, s[8:9] offset:256      // 00000000C2E4: DD488100 00084D5C
	s_mov_b64 exec, s[36:37]                                   // 00000000C2EC: BEFE0124
	s_mov_b64 exec, s[34:35]                                   // 00000000C2F0: BEFE0122
	global_atomic_pk_add_bf16 v94, v78, s[8:9]                 // 00000000C2F4: DD488000 00084E5E
	s_mov_b64 exec, s[36:37]                                   // 00000000C2FC: BEFE0124
	s_mov_b64 exec, s[34:35]                                   // 00000000C300: BEFE0122
	global_atomic_pk_add_bf16 v94, v79, s[8:9] offset:256      // 00000000C304: DD488100 00084F5E
	s_mov_b64 exec, s[36:37]                                   // 00000000C30C: BEFE0124
	s_add_u32 s8, s59, s8                                      // 00000000C310: 8008083B
	s_addc_u32 s9, 0, s9                                       // 00000000C314: 82090980
	s_addk_i32 s80, 0x100                                      // 00000000C318: B7500100
	s_cmp_lt_i32 s80, s81                                      // 00000000C31C: BF045150
	s_cbranch_scc0 label_15CC                                  // 00000000C320: BF84F083
	s_waitcnt vmcnt(45)                                        // 00000000C324: BF8C8F7D
	s_barrier                                                  // 00000000C328: BF8A0000
	v_mfma_i32_16x16x32_i8 v[224:227], a[128:129], v[128:129], 0// 00000000C32C: D3D700E0 0A030180
	buffer_load_dwordx4 a[0:3], v42, s[12:15], 0 offen         // 00000000C334: E05C1000 8083002A
	v_mfma_i32_16x16x32_i8 v[224:227], a[130:131], v[130:131], v[224:227]// 00000000C33C: D3D700E0 0F830582
	v_mfma_i32_16x16x32_i8 v[228:231], a[128:129], v[160:161], 0// 00000000C344: D3D700E4 0A034180
	v_mfma_i32_16x16x32_i8 v[228:231], a[130:131], v[162:163], v[228:231]// 00000000C34C: D3D700E4 0F934582
	v_mfma_i32_16x16x32_i8 v[232:235], a[132:133], v[128:129], 0// 00000000C354: D3D700E8 0A030184
	buffer_load_dwordx4 a[4:7], v43, s[12:15], 0 offen         // 00000000C35C: E05C1000 8083042B
	v_mfma_i32_16x16x32_i8 v[232:235], a[134:135], v[130:131], v[232:235]// 00000000C364: D3D700E8 0FA30586
	v_mfma_i32_16x16x32_i8 v[236:239], a[132:133], v[160:161], 0// 00000000C36C: D3D700EC 0A034184
	v_mfma_i32_16x16x32_i8 v[236:239], a[134:135], v[162:163], v[236:239]// 00000000C374: D3D700EC 0FB34586
	v_mfma_i32_16x16x32_i8 v[240:243], a[136:137], v[128:129], 0// 00000000C37C: D3D700F0 0A030188
	buffer_load_dwordx4 a[8:11], v44, s[12:15], 0 offen        // 00000000C384: E05C1000 8083082C
	v_mfma_i32_16x16x32_i8 v[240:243], a[138:139], v[130:131], v[240:243]// 00000000C38C: D3D700F0 0FC3058A
	v_mfma_i32_16x16x32_i8 v[244:247], a[136:137], v[160:161], 0// 00000000C394: D3D700F4 0A034188
	v_mfma_i32_16x16x32_i8 v[244:247], a[138:139], v[162:163], v[244:247]// 00000000C39C: D3D700F4 0FD3458A
	v_mfma_i32_16x16x32_i8 v[248:251], a[140:141], v[128:129], 0// 00000000C3A4: D3D700F8 0A03018C
	buffer_load_dwordx4 a[12:15], v45, s[12:15], 0 offen       // 00000000C3AC: E05C1000 80830C2D
	s_add_u32 s12, s78, s12                                    // 00000000C3B4: 800C0C4E
	s_addc_u32 s13, 0, s13                                     // 00000000C3B8: 820D0D80
	v_mfma_i32_16x16x32_i8 v[248:251], a[142:143], v[130:131], v[248:251]// 00000000C3BC: D3D700F8 0FE3058E
	v_mfma_i32_16x16x32_i8 v[252:255], a[140:141], v[160:161], 0// 00000000C3C4: D3D700FC 0A03418C
	v_mfma_i32_16x16x32_i8 v[252:255], a[142:143], v[162:163], v[252:255]// 00000000C3CC: D3D700FC 0FF3458E
	s_waitcnt vmcnt(45)                                        // 00000000C3D4: BF8C8F7D
	v_mfma_i32_16x16x32_i8 v[224:227], a[144:145], v[132:133], v[224:227]// 00000000C3D8: D3D700E0 0F830990
	buffer_load_dwordx4 a[16:19], v42, s[12:15], 0 offen       // 00000000C3E0: E05C1000 8083102A
	v_mfma_i32_16x16x32_i8 v[224:227], a[146:147], v[134:135], v[224:227]// 00000000C3E8: D3D700E0 0F830D92
	v_mfma_i32_16x16x32_i8 v[228:231], a[144:145], v[164:165], v[228:231]// 00000000C3F0: D3D700E4 0F934990
	v_mfma_i32_16x16x32_i8 v[228:231], a[146:147], v[166:167], v[228:231]// 00000000C3F8: D3D700E4 0F934D92
	v_mfma_i32_16x16x32_i8 v[232:235], a[148:149], v[132:133], v[232:235]// 00000000C400: D3D700E8 0FA30994
	buffer_load_dwordx4 a[20:23], v43, s[12:15], 0 offen       // 00000000C408: E05C1000 8083142B
	v_mfma_i32_16x16x32_i8 v[232:235], a[150:151], v[134:135], v[232:235]// 00000000C410: D3D700E8 0FA30D96
	v_mfma_i32_16x16x32_i8 v[236:239], a[148:149], v[164:165], v[236:239]// 00000000C418: D3D700EC 0FB34994
	v_mfma_i32_16x16x32_i8 v[236:239], a[150:151], v[166:167], v[236:239]// 00000000C420: D3D700EC 0FB34D96
	v_mfma_i32_16x16x32_i8 v[240:243], a[152:153], v[132:133], v[240:243]// 00000000C428: D3D700F0 0FC30998
	buffer_load_dwordx4 a[24:27], v44, s[12:15], 0 offen       // 00000000C430: E05C1000 8083182C
	v_mfma_i32_16x16x32_i8 v[240:243], a[154:155], v[134:135], v[240:243]// 00000000C438: D3D700F0 0FC30D9A
	v_mfma_i32_16x16x32_i8 v[244:247], a[152:153], v[164:165], v[244:247]// 00000000C440: D3D700F4 0FD34998
	v_mfma_i32_16x16x32_i8 v[244:247], a[154:155], v[166:167], v[244:247]// 00000000C448: D3D700F4 0FD34D9A
	v_mfma_i32_16x16x32_i8 v[248:251], a[156:157], v[132:133], v[248:251]// 00000000C450: D3D700F8 0FE3099C
	buffer_load_dwordx4 a[28:31], v45, s[12:15], 0 offen       // 00000000C458: E05C1000 80831C2D
	s_add_u32 s12, s78, s12                                    // 00000000C460: 800C0C4E
	s_addc_u32 s13, 0, s13                                     // 00000000C464: 820D0D80
	v_mfma_i32_16x16x32_i8 v[248:251], a[158:159], v[134:135], v[248:251]// 00000000C468: D3D700F8 0FE30D9E
	v_mfma_i32_16x16x32_i8 v[252:255], a[156:157], v[164:165], v[252:255]// 00000000C470: D3D700FC 0FF3499C
	v_mfma_i32_16x16x32_i8 v[252:255], a[158:159], v[166:167], v[252:255]// 00000000C478: D3D700FC 0FF34D9E
	s_waitcnt vmcnt(45)                                        // 00000000C480: BF8C8F7D
	v_mfma_i32_16x16x32_i8 v[224:227], a[160:161], v[136:137], v[224:227]// 00000000C484: D3D700E0 0F8311A0
	buffer_load_dwordx4 a[32:35], v42, s[12:15], 0 offen       // 00000000C48C: E05C1000 8083202A
	v_mfma_i32_16x16x32_i8 v[224:227], a[162:163], v[138:139], v[224:227]// 00000000C494: D3D700E0 0F8315A2
	v_mfma_i32_16x16x32_i8 v[228:231], a[160:161], v[168:169], v[228:231]// 00000000C49C: D3D700E4 0F9351A0
	v_mfma_i32_16x16x32_i8 v[228:231], a[162:163], v[170:171], v[228:231]// 00000000C4A4: D3D700E4 0F9355A2
	v_mfma_i32_16x16x32_i8 v[232:235], a[164:165], v[136:137], v[232:235]// 00000000C4AC: D3D700E8 0FA311A4
	buffer_load_dwordx4 a[36:39], v43, s[12:15], 0 offen       // 00000000C4B4: E05C1000 8083242B
	v_mfma_i32_16x16x32_i8 v[232:235], a[166:167], v[138:139], v[232:235]// 00000000C4BC: D3D700E8 0FA315A6
	v_mfma_i32_16x16x32_i8 v[236:239], a[164:165], v[168:169], v[236:239]// 00000000C4C4: D3D700EC 0FB351A4
	v_mfma_i32_16x16x32_i8 v[236:239], a[166:167], v[170:171], v[236:239]// 00000000C4CC: D3D700EC 0FB355A6
	v_mfma_i32_16x16x32_i8 v[240:243], a[168:169], v[136:137], v[240:243]// 00000000C4D4: D3D700F0 0FC311A8
	buffer_load_dwordx4 a[40:43], v44, s[12:15], 0 offen       // 00000000C4DC: E05C1000 8083282C
	v_mfma_i32_16x16x32_i8 v[240:243], a[170:171], v[138:139], v[240:243]// 00000000C4E4: D3D700F0 0FC315AA
	v_mfma_i32_16x16x32_i8 v[244:247], a[168:169], v[168:169], v[244:247]// 00000000C4EC: D3D700F4 0FD351A8
	v_mfma_i32_16x16x32_i8 v[244:247], a[170:171], v[170:171], v[244:247]// 00000000C4F4: D3D700F4 0FD355AA
	v_mfma_i32_16x16x32_i8 v[248:251], a[172:173], v[136:137], v[248:251]// 00000000C4FC: D3D700F8 0FE311AC
	buffer_load_dwordx4 a[44:47], v45, s[12:15], 0 offen       // 00000000C504: E05C1000 80832C2D
	s_add_u32 s12, s78, s12                                    // 00000000C50C: 800C0C4E
	s_addc_u32 s13, 0, s13                                     // 00000000C510: 820D0D80
	v_mfma_i32_16x16x32_i8 v[248:251], a[174:175], v[138:139], v[248:251]// 00000000C514: D3D700F8 0FE315AE
	v_mfma_i32_16x16x32_i8 v[252:255], a[172:173], v[168:169], v[252:255]// 00000000C51C: D3D700FC 0FF351AC
	v_mfma_i32_16x16x32_i8 v[252:255], a[174:175], v[170:171], v[252:255]// 00000000C524: D3D700FC 0FF355AE
	s_waitcnt vmcnt(45)                                        // 00000000C52C: BF8C8F7D
	v_mfma_i32_16x16x32_i8 v[224:227], a[176:177], v[140:141], v[224:227]// 00000000C530: D3D700E0 0F8319B0
	buffer_load_dwordx4 a[48:51], v42, s[12:15], 0 offen       // 00000000C538: E05C1000 8083302A
	v_mfma_i32_16x16x32_i8 v[224:227], a[178:179], v[142:143], v[224:227]// 00000000C540: D3D700E0 0F831DB2
	v_mfma_i32_16x16x32_i8 v[228:231], a[176:177], v[172:173], v[228:231]// 00000000C548: D3D700E4 0F9359B0
	v_mfma_i32_16x16x32_i8 v[228:231], a[178:179], v[174:175], v[228:231]// 00000000C550: D3D700E4 0F935DB2
	v_mfma_i32_16x16x32_i8 v[232:235], a[180:181], v[140:141], v[232:235]// 00000000C558: D3D700E8 0FA319B4
	buffer_load_dwordx4 a[52:55], v43, s[12:15], 0 offen       // 00000000C560: E05C1000 8083342B
	v_mfma_i32_16x16x32_i8 v[232:235], a[182:183], v[142:143], v[232:235]// 00000000C568: D3D700E8 0FA31DB6
	v_mfma_i32_16x16x32_i8 v[236:239], a[180:181], v[172:173], v[236:239]// 00000000C570: D3D700EC 0FB359B4
	v_mfma_i32_16x16x32_i8 v[236:239], a[182:183], v[174:175], v[236:239]// 00000000C578: D3D700EC 0FB35DB6
	v_mfma_i32_16x16x32_i8 v[240:243], a[184:185], v[140:141], v[240:243]// 00000000C580: D3D700F0 0FC319B8
	buffer_load_dwordx4 a[56:59], v44, s[12:15], 0 offen       // 00000000C588: E05C1000 8083382C
	v_mfma_i32_16x16x32_i8 v[240:243], a[186:187], v[142:143], v[240:243]// 00000000C590: D3D700F0 0FC31DBA
	v_mfma_i32_16x16x32_i8 v[244:247], a[184:185], v[172:173], v[244:247]// 00000000C598: D3D700F4 0FD359B8
	v_mfma_i32_16x16x32_i8 v[244:247], a[186:187], v[174:175], v[244:247]// 00000000C5A0: D3D700F4 0FD35DBA
	v_mfma_i32_16x16x32_i8 v[248:251], a[188:189], v[140:141], v[248:251]// 00000000C5A8: D3D700F8 0FE319BC
	buffer_load_dwordx4 a[60:63], v45, s[12:15], 0 offen       // 00000000C5B0: E05C1000 80833C2D
	s_add_u32 s12, s78, s12                                    // 00000000C5B8: 800C0C4E
	s_addc_u32 s13, 0, s13                                     // 00000000C5BC: 820D0D80
	v_mfma_i32_16x16x32_i8 v[248:251], a[190:191], v[142:143], v[248:251]// 00000000C5C0: D3D700F8 0FE31DBE
	v_mfma_i32_16x16x32_i8 v[252:255], a[188:189], v[172:173], v[252:255]// 00000000C5C8: D3D700FC 0FF359BC
	v_mfma_i32_16x16x32_i8 v[252:255], a[190:191], v[174:175], v[252:255]// 00000000C5D0: D3D700FC 0FF35DBE
	s_waitcnt vmcnt(45)                                        // 00000000C5D8: BF8C8F7D
	v_mfma_i32_16x16x32_i8 v[224:227], a[192:193], v[144:145], v[224:227]// 00000000C5DC: D3D700E0 0F8321C0
	buffer_load_dwordx4 a[64:67], v42, s[12:15], 0 offen       // 00000000C5E4: E05C1000 8083402A
	v_mfma_i32_16x16x32_i8 v[224:227], a[194:195], v[146:147], v[224:227]// 00000000C5EC: D3D700E0 0F8325C2
	v_mfma_i32_16x16x32_i8 v[228:231], a[192:193], v[176:177], v[228:231]// 00000000C5F4: D3D700E4 0F9361C0
	v_mfma_i32_16x16x32_i8 v[228:231], a[194:195], v[178:179], v[228:231]// 00000000C5FC: D3D700E4 0F9365C2
	v_mfma_i32_16x16x32_i8 v[232:235], a[196:197], v[144:145], v[232:235]// 00000000C604: D3D700E8 0FA321C4
	buffer_load_dwordx4 a[68:71], v43, s[12:15], 0 offen       // 00000000C60C: E05C1000 8083442B
	v_mfma_i32_16x16x32_i8 v[232:235], a[198:199], v[146:147], v[232:235]// 00000000C614: D3D700E8 0FA325C6
	v_mfma_i32_16x16x32_i8 v[236:239], a[196:197], v[176:177], v[236:239]// 00000000C61C: D3D700EC 0FB361C4
	v_mfma_i32_16x16x32_i8 v[236:239], a[198:199], v[178:179], v[236:239]// 00000000C624: D3D700EC 0FB365C6
	v_mfma_i32_16x16x32_i8 v[240:243], a[200:201], v[144:145], v[240:243]// 00000000C62C: D3D700F0 0FC321C8
	buffer_load_dwordx4 a[72:75], v44, s[12:15], 0 offen       // 00000000C634: E05C1000 8083482C
	v_mfma_i32_16x16x32_i8 v[240:243], a[202:203], v[146:147], v[240:243]// 00000000C63C: D3D700F0 0FC325CA
	v_mfma_i32_16x16x32_i8 v[244:247], a[200:201], v[176:177], v[244:247]// 00000000C644: D3D700F4 0FD361C8
	v_mfma_i32_16x16x32_i8 v[244:247], a[202:203], v[178:179], v[244:247]// 00000000C64C: D3D700F4 0FD365CA
	v_mfma_i32_16x16x32_i8 v[248:251], a[204:205], v[144:145], v[248:251]// 00000000C654: D3D700F8 0FE321CC
	buffer_load_dwordx4 a[76:79], v45, s[12:15], 0 offen       // 00000000C65C: E05C1000 80834C2D
	s_add_u32 s12, s78, s12                                    // 00000000C664: 800C0C4E
	s_addc_u32 s13, 0, s13                                     // 00000000C668: 820D0D80
	v_mfma_i32_16x16x32_i8 v[248:251], a[206:207], v[146:147], v[248:251]// 00000000C66C: D3D700F8 0FE325CE
	v_mfma_i32_16x16x32_i8 v[252:255], a[204:205], v[176:177], v[252:255]// 00000000C674: D3D700FC 0FF361CC
	v_mfma_i32_16x16x32_i8 v[252:255], a[206:207], v[178:179], v[252:255]// 00000000C67C: D3D700FC 0FF365CE
	s_waitcnt vmcnt(45)                                        // 00000000C684: BF8C8F7D
	v_mfma_i32_16x16x32_i8 v[224:227], a[208:209], v[148:149], v[224:227]// 00000000C688: D3D700E0 0F8329D0
	buffer_load_dwordx4 a[80:83], v42, s[12:15], 0 offen       // 00000000C690: E05C1000 8083502A
	v_mfma_i32_16x16x32_i8 v[224:227], a[210:211], v[150:151], v[224:227]// 00000000C698: D3D700E0 0F832DD2
	v_mfma_i32_16x16x32_i8 v[228:231], a[208:209], v[180:181], v[228:231]// 00000000C6A0: D3D700E4 0F9369D0
	v_mfma_i32_16x16x32_i8 v[228:231], a[210:211], v[182:183], v[228:231]// 00000000C6A8: D3D700E4 0F936DD2
	v_mfma_i32_16x16x32_i8 v[232:235], a[212:213], v[148:149], v[232:235]// 00000000C6B0: D3D700E8 0FA329D4
	buffer_load_dwordx4 a[84:87], v43, s[12:15], 0 offen       // 00000000C6B8: E05C1000 8083542B
	v_mfma_i32_16x16x32_i8 v[232:235], a[214:215], v[150:151], v[232:235]// 00000000C6C0: D3D700E8 0FA32DD6
	v_mfma_i32_16x16x32_i8 v[236:239], a[212:213], v[180:181], v[236:239]// 00000000C6C8: D3D700EC 0FB369D4
	v_mfma_i32_16x16x32_i8 v[236:239], a[214:215], v[182:183], v[236:239]// 00000000C6D0: D3D700EC 0FB36DD6
	v_mfma_i32_16x16x32_i8 v[240:243], a[216:217], v[148:149], v[240:243]// 00000000C6D8: D3D700F0 0FC329D8
	buffer_load_dwordx4 a[88:91], v44, s[12:15], 0 offen       // 00000000C6E0: E05C1000 8083582C
	v_mfma_i32_16x16x32_i8 v[240:243], a[218:219], v[150:151], v[240:243]// 00000000C6E8: D3D700F0 0FC32DDA
	v_mfma_i32_16x16x32_i8 v[244:247], a[216:217], v[180:181], v[244:247]// 00000000C6F0: D3D700F4 0FD369D8
	v_mfma_i32_16x16x32_i8 v[244:247], a[218:219], v[182:183], v[244:247]// 00000000C6F8: D3D700F4 0FD36DDA
	v_mfma_i32_16x16x32_i8 v[248:251], a[220:221], v[148:149], v[248:251]// 00000000C700: D3D700F8 0FE329DC
	buffer_load_dwordx4 a[92:95], v45, s[12:15], 0 offen       // 00000000C708: E05C1000 80835C2D
	s_add_u32 s12, s78, s12                                    // 00000000C710: 800C0C4E
	s_addc_u32 s13, 0, s13                                     // 00000000C714: 820D0D80
	v_mfma_i32_16x16x32_i8 v[248:251], a[222:223], v[150:151], v[248:251]// 00000000C718: D3D700F8 0FE32DDE
	v_mfma_i32_16x16x32_i8 v[252:255], a[220:221], v[180:181], v[252:255]// 00000000C720: D3D700FC 0FF369DC
	v_mfma_i32_16x16x32_i8 v[252:255], a[222:223], v[182:183], v[252:255]// 00000000C728: D3D700FC 0FF36DDE
	s_waitcnt vmcnt(45)                                        // 00000000C730: BF8C8F7D
	v_mfma_i32_16x16x32_i8 v[224:227], a[224:225], v[152:153], v[224:227]// 00000000C734: D3D700E0 0F8331E0
	buffer_load_dwordx4 a[96:99], v42, s[12:15], 0 offen       // 00000000C73C: E05C1000 8083602A
	v_mfma_i32_16x16x32_i8 v[224:227], a[226:227], v[154:155], v[224:227]// 00000000C744: D3D700E0 0F8335E2
	v_mfma_i32_16x16x32_i8 v[228:231], a[224:225], v[184:185], v[228:231]// 00000000C74C: D3D700E4 0F9371E0
	v_mfma_i32_16x16x32_i8 v[228:231], a[226:227], v[186:187], v[228:231]// 00000000C754: D3D700E4 0F9375E2
	v_mfma_i32_16x16x32_i8 v[232:235], a[228:229], v[152:153], v[232:235]// 00000000C75C: D3D700E8 0FA331E4
	buffer_load_dwordx4 a[100:103], v43, s[12:15], 0 offen     // 00000000C764: E05C1000 8083642B
	v_mfma_i32_16x16x32_i8 v[232:235], a[230:231], v[154:155], v[232:235]// 00000000C76C: D3D700E8 0FA335E6
	v_mfma_i32_16x16x32_i8 v[236:239], a[228:229], v[184:185], v[236:239]// 00000000C774: D3D700EC 0FB371E4
	v_mfma_i32_16x16x32_i8 v[236:239], a[230:231], v[186:187], v[236:239]// 00000000C77C: D3D700EC 0FB375E6
	v_mfma_i32_16x16x32_i8 v[240:243], a[232:233], v[152:153], v[240:243]// 00000000C784: D3D700F0 0FC331E8
	buffer_load_dwordx4 a[104:107], v44, s[12:15], 0 offen     // 00000000C78C: E05C1000 8083682C
	v_mfma_i32_16x16x32_i8 v[240:243], a[234:235], v[154:155], v[240:243]// 00000000C794: D3D700F0 0FC335EA
	v_mfma_i32_16x16x32_i8 v[244:247], a[232:233], v[184:185], v[244:247]// 00000000C79C: D3D700F4 0FD371E8
	v_mfma_i32_16x16x32_i8 v[244:247], a[234:235], v[186:187], v[244:247]// 00000000C7A4: D3D700F4 0FD375EA
	v_mfma_i32_16x16x32_i8 v[248:251], a[236:237], v[152:153], v[248:251]// 00000000C7AC: D3D700F8 0FE331EC
	buffer_load_dwordx4 a[108:111], v45, s[12:15], 0 offen     // 00000000C7B4: E05C1000 80836C2D
	s_add_u32 s12, s78, s12                                    // 00000000C7BC: 800C0C4E
	s_addc_u32 s13, 0, s13                                     // 00000000C7C0: 820D0D80
	v_mfma_i32_16x16x32_i8 v[248:251], a[238:239], v[154:155], v[248:251]// 00000000C7C4: D3D700F8 0FE335EE
	v_mfma_i32_16x16x32_i8 v[252:255], a[236:237], v[184:185], v[252:255]// 00000000C7CC: D3D700FC 0FF371EC
	v_mfma_i32_16x16x32_i8 v[252:255], a[238:239], v[186:187], v[252:255]// 00000000C7D4: D3D700FC 0FF375EE
	s_waitcnt vmcnt(44)                                        // 00000000C7DC: BF8C8F7C
	v_mfma_i32_16x16x32_i8 v[224:227], a[240:241], v[156:157], v[224:227]// 00000000C7E0: D3D700E0 0F8339F0
	buffer_load_dwordx4 a[112:115], v42, s[12:15], 0 offen     // 00000000C7E8: E05C1000 8083702A
	v_mfma_i32_16x16x32_i8 v[224:227], a[242:243], v[158:159], v[224:227]// 00000000C7F0: D3D700E0 0F833DF2
	v_mfma_i32_16x16x32_i8 v[228:231], a[240:241], v[188:189], v[228:231]// 00000000C7F8: D3D700E4 0F9379F0
	buffer_load_dword v12, v5, s[16:19], 0 offen               // 00000000C800: E0501000 80040C05
	v_mfma_i32_16x16x32_i8 v[228:231], a[242:243], v[190:191], v[228:231]// 00000000C808: D3D700E4 0F937DF2
	v_mfma_i32_16x16x32_i8 v[232:235], a[244:245], v[156:157], v[232:235]// 00000000C810: D3D700E8 0FA339F4
	buffer_load_dwordx4 a[116:119], v43, s[12:15], 0 offen     // 00000000C818: E05C1000 8083742B
	v_mfma_i32_16x16x32_i8 v[232:235], a[246:247], v[158:159], v[232:235]// 00000000C820: D3D700E8 0FA33DF6
	v_mfma_i32_16x16x32_i8 v[236:239], a[244:245], v[188:189], v[236:239]// 00000000C828: D3D700EC 0FB379F4
	v_mfma_i32_16x16x32_i8 v[236:239], a[246:247], v[190:191], v[236:239]// 00000000C830: D3D700EC 0FB37DF6
	v_mfma_i32_16x16x32_i8 v[240:243], a[248:249], v[156:157], v[240:243]// 00000000C838: D3D700F0 0FC339F8
	buffer_load_dwordx4 a[120:123], v44, s[12:15], 0 offen     // 00000000C840: E05C1000 8083782C
	v_mfma_i32_16x16x32_i8 v[240:243], a[250:251], v[158:159], v[240:243]// 00000000C848: D3D700F0 0FC33DFA
	v_mfma_i32_16x16x32_i8 v[244:247], a[248:249], v[188:189], v[244:247]// 00000000C850: D3D700F4 0FD379F8
	v_mfma_i32_16x16x32_i8 v[244:247], a[250:251], v[190:191], v[244:247]// 00000000C858: D3D700F4 0FD37DFA
	v_mfma_i32_16x16x32_i8 v[248:251], a[252:253], v[156:157], v[248:251]// 00000000C860: D3D700F8 0FE339FC
	buffer_load_dwordx4 a[124:127], v45, s[12:15], 0 offen     // 00000000C868: E05C1000 80837C2D
	v_mfma_i32_16x16x32_i8 v[248:251], a[254:255], v[158:159], v[248:251]// 00000000C870: D3D700F8 0FE33DFE
	v_mfma_i32_16x16x32_i8 v[252:255], a[252:253], v[188:189], v[252:255]// 00000000C878: D3D700FC 0FF379FC
	v_mfma_i32_16x16x32_i8 v[252:255], a[254:255], v[190:191], v[252:255]// 00000000C880: D3D700FC 0FF37DFE
	s_add_u32 s60, 0x200, s80                                  // 00000000C888: 803C50FF 00000200
	s_cmp_lt_u32 s60, s81                                      // 00000000C890: BF0A513C
	s_cselect_b32 s56, s56, 0                                  // 00000000C894: 85388038
	s_cselect_b32 s78, s78, 0                                  // 00000000C898: 854E804E
	s_cselect_b32 s79, s79, 0                                  // 00000000C89C: 854F804F
	s_add_u32 s12, s56, s12                                    // 00000000C8A0: 800C0C38
	s_addc_u32 s13, 0, s13                                     // 00000000C8A4: 820D0D80
	s_add_u32 s16, s79, s16                                    // 00000000C8A8: 8010104F
	s_addc_u32 s17, 0, s17                                     // 00000000C8AC: 82111180
	v_cvt_f32_i32_e32 v224, v224                               // 00000000C8B0: 7FC00BE0
	v_cvt_f32_i32_e32 v225, v225                               // 00000000C8B4: 7FC20BE1
	v_cvt_f32_i32_e32 v226, v226                               // 00000000C8B8: 7FC40BE2
	v_cvt_f32_i32_e32 v227, v227                               // 00000000C8BC: 7FC60BE3
	v_mul_f32_e32 v224, v24, v224                              // 00000000C8C0: 0BC1C118
	v_mul_f32_e32 v225, v24, v225                              // 00000000C8C4: 0BC3C318
	v_mul_f32_e32 v226, v24, v226                              // 00000000C8C8: 0BC5C518
	v_mul_f32_e32 v227, v24, v227                              // 00000000C8CC: 0BC7C718
	v_mul_f32_dpp v224, v13, v224 row_newbcast:0 row_mask:0xf bank_mask:0xf// 00000000C8D0: 0BC1C0FA FF01500D
	v_mul_f32_dpp v225, v13, v225 row_newbcast:1 row_mask:0xf bank_mask:0xf// 00000000C8D8: 0BC3C2FA FF01510D
	v_mul_f32_dpp v226, v13, v226 row_newbcast:2 row_mask:0xf bank_mask:0xf// 00000000C8E0: 0BC5C4FA FF01520D
	v_mul_f32_dpp v227, v13, v227 row_newbcast:3 row_mask:0xf bank_mask:0xf// 00000000C8E8: 0BC7C6FA FF01530D
	v_mul_f32_e32 v224, v20, v224                              // 00000000C8F0: 0BC1C114
	v_mul_f32_e32 v225, v20, v225                              // 00000000C8F4: 0BC3C314
	v_mul_f32_e32 v226, v20, v226                              // 00000000C8F8: 0BC5C514
	v_mul_f32_e32 v227, v20, v227                              // 00000000C8FC: 0BC7C714
	v_cvt_f32_i32_e32 v228, v228                               // 00000000C900: 7FC80BE4
	v_cvt_f32_i32_e32 v229, v229                               // 00000000C904: 7FCA0BE5
	v_cvt_f32_i32_e32 v230, v230                               // 00000000C908: 7FCC0BE6
	v_cvt_f32_i32_e32 v231, v231                               // 00000000C90C: 7FCE0BE7
	v_mul_f32_e32 v228, v25, v228                              // 00000000C910: 0BC9C919
	v_mul_f32_e32 v229, v25, v229                              // 00000000C914: 0BCBCB19
	v_mul_f32_e32 v230, v25, v230                              // 00000000C918: 0BCDCD19
	v_mul_f32_e32 v231, v25, v231                              // 00000000C91C: 0BCFCF19
	v_mul_f32_dpp v228, v13, v228 row_newbcast:0 row_mask:0xf bank_mask:0xf// 00000000C920: 0BC9C8FA FF01500D
	v_mul_f32_dpp v229, v13, v229 row_newbcast:1 row_mask:0xf bank_mask:0xf// 00000000C928: 0BCBCAFA FF01510D
	v_mul_f32_dpp v230, v13, v230 row_newbcast:2 row_mask:0xf bank_mask:0xf// 00000000C930: 0BCDCCFA FF01520D
	v_mul_f32_dpp v231, v13, v231 row_newbcast:3 row_mask:0xf bank_mask:0xf// 00000000C938: 0BCFCEFA FF01530D
	v_mul_f32_e32 v228, v21, v228                              // 00000000C940: 0BC9C915
	v_mul_f32_e32 v229, v21, v229                              // 00000000C944: 0BCBCB15
	v_mul_f32_e32 v230, v21, v230                              // 00000000C948: 0BCDCD15
	v_mul_f32_e32 v231, v21, v231                              // 00000000C94C: 0BCFCF15
	v_cvt_f32_i32_e32 v232, v232                               // 00000000C950: 7FD00BE8
	v_cvt_f32_i32_e32 v233, v233                               // 00000000C954: 7FD20BE9
	v_cvt_f32_i32_e32 v234, v234                               // 00000000C958: 7FD40BEA
	v_cvt_f32_i32_e32 v235, v235                               // 00000000C95C: 7FD60BEB
	v_mul_f32_e32 v232, v24, v232                              // 00000000C960: 0BD1D118
	v_mul_f32_e32 v233, v24, v233                              // 00000000C964: 0BD3D318
	v_mul_f32_e32 v234, v24, v234                              // 00000000C968: 0BD5D518
	v_mul_f32_e32 v235, v24, v235                              // 00000000C96C: 0BD7D718
	v_mul_f32_dpp v232, v13, v232 row_newbcast:4 row_mask:0xf bank_mask:0xf// 00000000C970: 0BD1D0FA FF01540D
	v_mul_f32_dpp v233, v13, v233 row_newbcast:5 row_mask:0xf bank_mask:0xf// 00000000C978: 0BD3D2FA FF01550D
	v_mul_f32_dpp v234, v13, v234 row_newbcast:6 row_mask:0xf bank_mask:0xf// 00000000C980: 0BD5D4FA FF01560D
	v_mul_f32_dpp v235, v13, v235 row_newbcast:7 row_mask:0xf bank_mask:0xf// 00000000C988: 0BD7D6FA FF01570D
	v_mul_f32_e32 v232, v20, v232                              // 00000000C990: 0BD1D114
	v_mul_f32_e32 v233, v20, v233                              // 00000000C994: 0BD3D314
	v_mul_f32_e32 v234, v20, v234                              // 00000000C998: 0BD5D514
	v_mul_f32_e32 v235, v20, v235                              // 00000000C99C: 0BD7D714
	v_cvt_f32_i32_e32 v236, v236                               // 00000000C9A0: 7FD80BEC
	v_cvt_f32_i32_e32 v237, v237                               // 00000000C9A4: 7FDA0BED
	v_cvt_f32_i32_e32 v238, v238                               // 00000000C9A8: 7FDC0BEE
	v_cvt_f32_i32_e32 v239, v239                               // 00000000C9AC: 7FDE0BEF
	v_mul_f32_e32 v236, v25, v236                              // 00000000C9B0: 0BD9D919
	v_mul_f32_e32 v237, v25, v237                              // 00000000C9B4: 0BDBDB19
	v_mul_f32_e32 v238, v25, v238                              // 00000000C9B8: 0BDDDD19
	v_mul_f32_e32 v239, v25, v239                              // 00000000C9BC: 0BDFDF19
	v_mul_f32_dpp v236, v13, v236 row_newbcast:4 row_mask:0xf bank_mask:0xf// 00000000C9C0: 0BD9D8FA FF01540D
	v_mul_f32_dpp v237, v13, v237 row_newbcast:5 row_mask:0xf bank_mask:0xf// 00000000C9C8: 0BDBDAFA FF01550D
	v_mul_f32_dpp v238, v13, v238 row_newbcast:6 row_mask:0xf bank_mask:0xf// 00000000C9D0: 0BDDDCFA FF01560D
	v_mul_f32_dpp v239, v13, v239 row_newbcast:7 row_mask:0xf bank_mask:0xf// 00000000C9D8: 0BDFDEFA FF01570D
	v_mul_f32_e32 v236, v21, v236                              // 00000000C9E0: 0BD9D915
	v_mul_f32_e32 v237, v21, v237                              // 00000000C9E4: 0BDBDB15
	v_mul_f32_e32 v238, v21, v238                              // 00000000C9E8: 0BDDDD15
	v_mul_f32_e32 v239, v21, v239                              // 00000000C9EC: 0BDFDF15
	v_cvt_f32_i32_e32 v240, v240                               // 00000000C9F0: 7FE00BF0
	v_cvt_f32_i32_e32 v241, v241                               // 00000000C9F4: 7FE20BF1
	v_cvt_f32_i32_e32 v242, v242                               // 00000000C9F8: 7FE40BF2
	v_cvt_f32_i32_e32 v243, v243                               // 00000000C9FC: 7FE60BF3
	v_mul_f32_e32 v240, v24, v240                              // 00000000CA00: 0BE1E118
	v_mul_f32_e32 v241, v24, v241                              // 00000000CA04: 0BE3E318
	v_mul_f32_e32 v242, v24, v242                              // 00000000CA08: 0BE5E518
	v_mul_f32_e32 v243, v24, v243                              // 00000000CA0C: 0BE7E718
	v_mul_f32_dpp v240, v13, v240 row_newbcast:8 row_mask:0xf bank_mask:0xf// 00000000CA10: 0BE1E0FA FF01580D
	v_mul_f32_dpp v241, v13, v241 row_newbcast:9 row_mask:0xf bank_mask:0xf// 00000000CA18: 0BE3E2FA FF01590D
	v_mul_f32_dpp v242, v13, v242 row_newbcast:10 row_mask:0xf bank_mask:0xf// 00000000CA20: 0BE5E4FA FF015A0D
	v_mul_f32_dpp v243, v13, v243 row_newbcast:11 row_mask:0xf bank_mask:0xf// 00000000CA28: 0BE7E6FA FF015B0D
	v_mul_f32_e32 v240, v20, v240                              // 00000000CA30: 0BE1E114
	v_mul_f32_e32 v241, v20, v241                              // 00000000CA34: 0BE3E314
	v_mul_f32_e32 v242, v20, v242                              // 00000000CA38: 0BE5E514
	v_mul_f32_e32 v243, v20, v243                              // 00000000CA3C: 0BE7E714
	v_cvt_f32_i32_e32 v244, v244                               // 00000000CA40: 7FE80BF4
	v_cvt_f32_i32_e32 v245, v245                               // 00000000CA44: 7FEA0BF5
	v_cvt_f32_i32_e32 v246, v246                               // 00000000CA48: 7FEC0BF6
	v_cvt_f32_i32_e32 v247, v247                               // 00000000CA4C: 7FEE0BF7
	v_mul_f32_e32 v244, v25, v244                              // 00000000CA50: 0BE9E919
	v_mul_f32_e32 v245, v25, v245                              // 00000000CA54: 0BEBEB19
	v_mul_f32_e32 v246, v25, v246                              // 00000000CA58: 0BEDED19
	v_mul_f32_e32 v247, v25, v247                              // 00000000CA5C: 0BEFEF19
	v_mul_f32_dpp v244, v13, v244 row_newbcast:8 row_mask:0xf bank_mask:0xf// 00000000CA60: 0BE9E8FA FF01580D
	v_mul_f32_dpp v245, v13, v245 row_newbcast:9 row_mask:0xf bank_mask:0xf// 00000000CA68: 0BEBEAFA FF01590D
	v_mul_f32_dpp v246, v13, v246 row_newbcast:10 row_mask:0xf bank_mask:0xf// 00000000CA70: 0BEDECFA FF015A0D
	v_mul_f32_dpp v247, v13, v247 row_newbcast:11 row_mask:0xf bank_mask:0xf// 00000000CA78: 0BEFEEFA FF015B0D
	v_mul_f32_e32 v244, v21, v244                              // 00000000CA80: 0BE9E915
	v_mul_f32_e32 v245, v21, v245                              // 00000000CA84: 0BEBEB15
	v_mul_f32_e32 v246, v21, v246                              // 00000000CA88: 0BEDED15
	v_mul_f32_e32 v247, v21, v247                              // 00000000CA8C: 0BEFEF15
	v_cvt_f32_i32_e32 v248, v248                               // 00000000CA90: 7FF00BF8
	v_cvt_f32_i32_e32 v249, v249                               // 00000000CA94: 7FF20BF9
	v_cvt_f32_i32_e32 v250, v250                               // 00000000CA98: 7FF40BFA
	v_cvt_f32_i32_e32 v251, v251                               // 00000000CA9C: 7FF60BFB
	v_mul_f32_e32 v248, v24, v248                              // 00000000CAA0: 0BF1F118
	v_mul_f32_e32 v249, v24, v249                              // 00000000CAA4: 0BF3F318
	v_mul_f32_e32 v250, v24, v250                              // 00000000CAA8: 0BF5F518
	v_mul_f32_e32 v251, v24, v251                              // 00000000CAAC: 0BF7F718
	v_mul_f32_dpp v248, v13, v248 row_newbcast:12 row_mask:0xf bank_mask:0xf// 00000000CAB0: 0BF1F0FA FF015C0D
	v_mul_f32_dpp v249, v13, v249 row_newbcast:13 row_mask:0xf bank_mask:0xf// 00000000CAB8: 0BF3F2FA FF015D0D
	v_mul_f32_dpp v250, v13, v250 row_newbcast:14 row_mask:0xf bank_mask:0xf// 00000000CAC0: 0BF5F4FA FF015E0D
	v_mul_f32_dpp v251, v13, v251 row_newbcast:15 row_mask:0xf bank_mask:0xf// 00000000CAC8: 0BF7F6FA FF015F0D
	v_mul_f32_e32 v248, v20, v248                              // 00000000CAD0: 0BF1F114
	v_mul_f32_e32 v249, v20, v249                              // 00000000CAD4: 0BF3F314
	v_mul_f32_e32 v250, v20, v250                              // 00000000CAD8: 0BF5F514
	v_mul_f32_e32 v251, v20, v251                              // 00000000CADC: 0BF7F714
	v_cvt_f32_i32_e32 v252, v252                               // 00000000CAE0: 7FF80BFC
	v_cvt_f32_i32_e32 v253, v253                               // 00000000CAE4: 7FFA0BFD
	v_cvt_f32_i32_e32 v254, v254                               // 00000000CAE8: 7FFC0BFE
	v_cvt_f32_i32_e32 v255, v255                               // 00000000CAEC: 7FFE0BFF
	v_mul_f32_e32 v252, v25, v252                              // 00000000CAF0: 0BF9F919
	v_mul_f32_e32 v253, v25, v253                              // 00000000CAF4: 0BFBFB19
	v_mul_f32_e32 v254, v25, v254                              // 00000000CAF8: 0BFDFD19
	v_mul_f32_e32 v255, v25, v255                              // 00000000CAFC: 0BFFFF19
	v_mul_f32_dpp v252, v13, v252 row_newbcast:12 row_mask:0xf bank_mask:0xf// 00000000CB00: 0BF9F8FA FF015C0D
	v_mul_f32_dpp v253, v13, v253 row_newbcast:13 row_mask:0xf bank_mask:0xf// 00000000CB08: 0BFBFAFA FF015D0D
	v_mul_f32_dpp v254, v13, v254 row_newbcast:14 row_mask:0xf bank_mask:0xf// 00000000CB10: 0BFDFCFA FF015E0D
	v_mul_f32_dpp v255, v13, v255 row_newbcast:15 row_mask:0xf bank_mask:0xf// 00000000CB18: 0BFFFEFA FF015F0D
	v_mul_f32_e32 v252, v21, v252                              // 00000000CB20: 0BF9F915
	v_mul_f32_e32 v253, v21, v253                              // 00000000CB24: 0BFBFB15
	v_mul_f32_e32 v254, v21, v254                              // 00000000CB28: 0BFDFD15
	v_mul_f32_e32 v255, v21, v255                              // 00000000CB2C: 0BFFFF15
	v_cmp_u_f32_e64 s[48:49], v224, v224                       // 00000000CB30: D0480030 0003C1E0
	v_add3_u32 v46, v224, v49, 1                               // 00000000CB38: D1FF002E 020663E0
	v_cndmask_b32_e64 v52, v46, v48, s[48:49]                  // 00000000CB40: D1000034 00C2612E
	v_cmp_u_f32_e64 s[48:49], v225, v225                       // 00000000CB48: D0480030 0003C3E1
	v_add3_u32 v46, v225, v49, 1                               // 00000000CB50: D1FF002E 020663E1
	v_cndmask_b32_e64 v53, v46, v48, s[48:49]                  // 00000000CB58: D1000035 00C2612E
	v_perm_b32 v224, v53, v52, s52                             // 00000000CB60: D1ED00E0 00D26935
	v_cmp_u_f32_e64 s[48:49], v226, v226                       // 00000000CB68: D0480030 0003C5E2
	v_add3_u32 v46, v226, v49, 1                               // 00000000CB70: D1FF002E 020663E2
	v_cndmask_b32_e64 v52, v46, v48, s[48:49]                  // 00000000CB78: D1000034 00C2612E
	v_cmp_u_f32_e64 s[48:49], v227, v227                       // 00000000CB80: D0480030 0003C7E3
	v_add3_u32 v46, v227, v49, 1                               // 00000000CB88: D1FF002E 020663E3
	v_cndmask_b32_e64 v53, v46, v48, s[48:49]                  // 00000000CB90: D1000035 00C2612E
	v_perm_b32 v225, v53, v52, s52                             // 00000000CB98: D1ED00E1 00D26935
	v_cmp_u_f32_e64 s[48:49], v228, v228                       // 00000000CBA0: D0480030 0003C9E4
	v_add3_u32 v46, v228, v49, 1                               // 00000000CBA8: D1FF002E 020663E4
	v_cndmask_b32_e64 v52, v46, v48, s[48:49]                  // 00000000CBB0: D1000034 00C2612E
	v_cmp_u_f32_e64 s[48:49], v229, v229                       // 00000000CBB8: D0480030 0003CBE5
	v_add3_u32 v46, v229, v49, 1                               // 00000000CBC0: D1FF002E 020663E5
	v_cndmask_b32_e64 v53, v46, v48, s[48:49]                  // 00000000CBC8: D1000035 00C2612E
	v_perm_b32 v226, v53, v52, s52                             // 00000000CBD0: D1ED00E2 00D26935
	v_cmp_u_f32_e64 s[48:49], v230, v230                       // 00000000CBD8: D0480030 0003CDE6
	v_add3_u32 v46, v230, v49, 1                               // 00000000CBE0: D1FF002E 020663E6
	v_cndmask_b32_e64 v52, v46, v48, s[48:49]                  // 00000000CBE8: D1000034 00C2612E
	v_cmp_u_f32_e64 s[48:49], v231, v231                       // 00000000CBF0: D0480030 0003CFE7
	v_add3_u32 v46, v231, v49, 1                               // 00000000CBF8: D1FF002E 020663E7
	v_cndmask_b32_e64 v53, v46, v48, s[48:49]                  // 00000000CC00: D1000035 00C2612E
	v_perm_b32 v227, v53, v52, s52                             // 00000000CC08: D1ED00E3 00D26935
	v_cmp_u_f32_e64 s[48:49], v232, v232                       // 00000000CC10: D0480030 0003D1E8
	v_add3_u32 v46, v232, v49, 1                               // 00000000CC18: D1FF002E 020663E8
	v_cndmask_b32_e64 v52, v46, v48, s[48:49]                  // 00000000CC20: D1000034 00C2612E
	v_cmp_u_f32_e64 s[48:49], v233, v233                       // 00000000CC28: D0480030 0003D3E9
	v_add3_u32 v46, v233, v49, 1                               // 00000000CC30: D1FF002E 020663E9
	v_cndmask_b32_e64 v53, v46, v48, s[48:49]                  // 00000000CC38: D1000035 00C2612E
	v_perm_b32 v228, v53, v52, s52                             // 00000000CC40: D1ED00E4 00D26935
	v_cmp_u_f32_e64 s[48:49], v234, v234                       // 00000000CC48: D0480030 0003D5EA
	v_add3_u32 v46, v234, v49, 1                               // 00000000CC50: D1FF002E 020663EA
	v_cndmask_b32_e64 v52, v46, v48, s[48:49]                  // 00000000CC58: D1000034 00C2612E
	v_cmp_u_f32_e64 s[48:49], v235, v235                       // 00000000CC60: D0480030 0003D7EB
	v_add3_u32 v46, v235, v49, 1                               // 00000000CC68: D1FF002E 020663EB
	v_cndmask_b32_e64 v53, v46, v48, s[48:49]                  // 00000000CC70: D1000035 00C2612E
	v_perm_b32 v229, v53, v52, s52                             // 00000000CC78: D1ED00E5 00D26935
	v_cmp_u_f32_e64 s[48:49], v236, v236                       // 00000000CC80: D0480030 0003D9EC
	v_add3_u32 v46, v236, v49, 1                               // 00000000CC88: D1FF002E 020663EC
	v_cndmask_b32_e64 v52, v46, v48, s[48:49]                  // 00000000CC90: D1000034 00C2612E
	v_cmp_u_f32_e64 s[48:49], v237, v237                       // 00000000CC98: D0480030 0003DBED
	v_add3_u32 v46, v237, v49, 1                               // 00000000CCA0: D1FF002E 020663ED
	v_cndmask_b32_e64 v53, v46, v48, s[48:49]                  // 00000000CCA8: D1000035 00C2612E
	v_perm_b32 v230, v53, v52, s52                             // 00000000CCB0: D1ED00E6 00D26935
	v_cmp_u_f32_e64 s[48:49], v238, v238                       // 00000000CCB8: D0480030 0003DDEE
	v_add3_u32 v46, v238, v49, 1                               // 00000000CCC0: D1FF002E 020663EE
	v_cndmask_b32_e64 v52, v46, v48, s[48:49]                  // 00000000CCC8: D1000034 00C2612E
	v_cmp_u_f32_e64 s[48:49], v239, v239                       // 00000000CCD0: D0480030 0003DFEF
	v_add3_u32 v46, v239, v49, 1                               // 00000000CCD8: D1FF002E 020663EF
	v_cndmask_b32_e64 v53, v46, v48, s[48:49]                  // 00000000CCE0: D1000035 00C2612E
	v_perm_b32 v231, v53, v52, s52                             // 00000000CCE8: D1ED00E7 00D26935
	v_cmp_u_f32_e64 s[48:49], v240, v240                       // 00000000CCF0: D0480030 0003E1F0
	v_add3_u32 v46, v240, v49, 1                               // 00000000CCF8: D1FF002E 020663F0
	v_cndmask_b32_e64 v52, v46, v48, s[48:49]                  // 00000000CD00: D1000034 00C2612E
	v_cmp_u_f32_e64 s[48:49], v241, v241                       // 00000000CD08: D0480030 0003E3F1
	v_add3_u32 v46, v241, v49, 1                               // 00000000CD10: D1FF002E 020663F1
	v_cndmask_b32_e64 v53, v46, v48, s[48:49]                  // 00000000CD18: D1000035 00C2612E
	v_perm_b32 v232, v53, v52, s52                             // 00000000CD20: D1ED00E8 00D26935
	v_cmp_u_f32_e64 s[48:49], v242, v242                       // 00000000CD28: D0480030 0003E5F2
	v_add3_u32 v46, v242, v49, 1                               // 00000000CD30: D1FF002E 020663F2
	v_cndmask_b32_e64 v52, v46, v48, s[48:49]                  // 00000000CD38: D1000034 00C2612E
	v_cmp_u_f32_e64 s[48:49], v243, v243                       // 00000000CD40: D0480030 0003E7F3
	v_add3_u32 v46, v243, v49, 1                               // 00000000CD48: D1FF002E 020663F3
	v_cndmask_b32_e64 v53, v46, v48, s[48:49]                  // 00000000CD50: D1000035 00C2612E
	v_perm_b32 v233, v53, v52, s52                             // 00000000CD58: D1ED00E9 00D26935
	v_cmp_u_f32_e64 s[48:49], v244, v244                       // 00000000CD60: D0480030 0003E9F4
	v_add3_u32 v46, v244, v49, 1                               // 00000000CD68: D1FF002E 020663F4
	v_cndmask_b32_e64 v52, v46, v48, s[48:49]                  // 00000000CD70: D1000034 00C2612E
	v_cmp_u_f32_e64 s[48:49], v245, v245                       // 00000000CD78: D0480030 0003EBF5
	v_add3_u32 v46, v245, v49, 1                               // 00000000CD80: D1FF002E 020663F5
	v_cndmask_b32_e64 v53, v46, v48, s[48:49]                  // 00000000CD88: D1000035 00C2612E
	v_perm_b32 v234, v53, v52, s52                             // 00000000CD90: D1ED00EA 00D26935
	v_cmp_u_f32_e64 s[48:49], v246, v246                       // 00000000CD98: D0480030 0003EDF6
	v_add3_u32 v46, v246, v49, 1                               // 00000000CDA0: D1FF002E 020663F6
	v_cndmask_b32_e64 v52, v46, v48, s[48:49]                  // 00000000CDA8: D1000034 00C2612E
	v_cmp_u_f32_e64 s[48:49], v247, v247                       // 00000000CDB0: D0480030 0003EFF7
	v_add3_u32 v46, v247, v49, 1                               // 00000000CDB8: D1FF002E 020663F7
	v_cndmask_b32_e64 v53, v46, v48, s[48:49]                  // 00000000CDC0: D1000035 00C2612E
	v_perm_b32 v235, v53, v52, s52                             // 00000000CDC8: D1ED00EB 00D26935
	v_cmp_u_f32_e64 s[48:49], v248, v248                       // 00000000CDD0: D0480030 0003F1F8
	v_add3_u32 v46, v248, v49, 1                               // 00000000CDD8: D1FF002E 020663F8
	v_cndmask_b32_e64 v52, v46, v48, s[48:49]                  // 00000000CDE0: D1000034 00C2612E
	v_cmp_u_f32_e64 s[48:49], v249, v249                       // 00000000CDE8: D0480030 0003F3F9
	v_add3_u32 v46, v249, v49, 1                               // 00000000CDF0: D1FF002E 020663F9
	v_cndmask_b32_e64 v53, v46, v48, s[48:49]                  // 00000000CDF8: D1000035 00C2612E
	v_perm_b32 v236, v53, v52, s52                             // 00000000CE00: D1ED00EC 00D26935
	v_cmp_u_f32_e64 s[48:49], v250, v250                       // 00000000CE08: D0480030 0003F5FA
	v_add3_u32 v46, v250, v49, 1                               // 00000000CE10: D1FF002E 020663FA
	v_cndmask_b32_e64 v52, v46, v48, s[48:49]                  // 00000000CE18: D1000034 00C2612E
	v_cmp_u_f32_e64 s[48:49], v251, v251                       // 00000000CE20: D0480030 0003F7FB
	v_add3_u32 v46, v251, v49, 1                               // 00000000CE28: D1FF002E 020663FB
	v_cndmask_b32_e64 v53, v46, v48, s[48:49]                  // 00000000CE30: D1000035 00C2612E
	v_perm_b32 v237, v53, v52, s52                             // 00000000CE38: D1ED00ED 00D26935
	v_cmp_u_f32_e64 s[48:49], v252, v252                       // 00000000CE40: D0480030 0003F9FC
	v_add3_u32 v46, v252, v49, 1                               // 00000000CE48: D1FF002E 020663FC
	v_cndmask_b32_e64 v52, v46, v48, s[48:49]                  // 00000000CE50: D1000034 00C2612E
	v_cmp_u_f32_e64 s[48:49], v253, v253                       // 00000000CE58: D0480030 0003FBFD
	v_add3_u32 v46, v253, v49, 1                               // 00000000CE60: D1FF002E 020663FD
	v_cndmask_b32_e64 v53, v46, v48, s[48:49]                  // 00000000CE68: D1000035 00C2612E
	v_perm_b32 v238, v53, v52, s52                             // 00000000CE70: D1ED00EE 00D26935
	v_cmp_u_f32_e64 s[48:49], v254, v254                       // 00000000CE78: D0480030 0003FDFE
	v_add3_u32 v46, v254, v49, 1                               // 00000000CE80: D1FF002E 020663FE
	v_cndmask_b32_e64 v52, v46, v48, s[48:49]                  // 00000000CE88: D1000034 00C2612E
	v_cmp_u_f32_e64 s[48:49], v255, v255                       // 00000000CE90: D0480030 0003FFFF
	v_add3_u32 v46, v255, v49, 1                               // 00000000CE98: D1FF002E 020663FF
	v_cndmask_b32_e64 v53, v46, v48, s[48:49]                  // 00000000CEA0: D1000035 00C2612E
	v_perm_b32 v239, v53, v52, s52                             // 00000000CEA8: D1ED00EF 00D26935
	ds_write_b64 v3, v[224:225] offset:35072                   // 00000000CEB0: D89A8900 0000E003
	ds_write_b64 v3, v[226:227] offset:43776                   // 00000000CEB8: D89AAB00 0000E203
	ds_write_b64 v3, v[228:229] offset:37248                   // 00000000CEC0: D89A9180 0000E403
	ds_write_b64 v3, v[230:231] offset:45952                   // 00000000CEC8: D89AB380 0000E603
	ds_write_b64 v3, v[232:233] offset:39424                   // 00000000CED0: D89A9A00 0000E803
	ds_write_b64 v3, v[234:235] offset:48128                   // 00000000CED8: D89ABC00 0000EA03
	ds_write_b64 v3, v[236:237] offset:41600                   // 00000000CEE0: D89AA280 0000EC03
	ds_write_b64 v3, v[238:239] offset:50304                   // 00000000CEE8: D89AC480 0000EE03
	s_waitcnt lgkmcnt(0)                                       // 00000000CEF0: BF8CC07F
	s_barrier                                                  // 00000000CEF4: BF8A0000
	ds_read_b32 v64, v4 offset:35072                           // 00000000CEF8: D86C8900 40000004
	ds_read_b32 v65, v4 offset:39424                           // 00000000CF00: D86C9A00 41000004
	ds_read_b32 v66, v4 offset:35104                           // 00000000CF08: D86C8920 42000004
	ds_read_b32 v67, v4 offset:39456                           // 00000000CF10: D86C9A20 43000004
	ds_read_b32 v68, v4 offset:35136                           // 00000000CF18: D86C8940 44000004
	ds_read_b32 v69, v4 offset:39488                           // 00000000CF20: D86C9A40 45000004
	ds_read_b32 v70, v4 offset:35168                           // 00000000CF28: D86C8960 46000004
	ds_read_b32 v71, v4 offset:39520                           // 00000000CF30: D86C9A60 47000004
	ds_read_b32 v72, v4 offset:43776                           // 00000000CF38: D86CAB00 48000004
	ds_read_b32 v73, v4 offset:48128                           // 00000000CF40: D86CBC00 49000004
	ds_read_b32 v74, v4 offset:43808                           // 00000000CF48: D86CAB20 4A000004
	ds_read_b32 v75, v4 offset:48160                           // 00000000CF50: D86CBC20 4B000004
	ds_read_b32 v76, v4 offset:43840                           // 00000000CF58: D86CAB40 4C000004
	ds_read_b32 v77, v4 offset:48192                           // 00000000CF60: D86CBC40 4D000004
	ds_read_b32 v78, v4 offset:43872                           // 00000000CF68: D86CAB60 4E000004
	ds_read_b32 v79, v4 offset:48224                           // 00000000CF70: D86CBC60 4F000004
	s_waitcnt lgkmcnt(0)                                       // 00000000CF78: BF8CC07F
	s_mov_b64 exec, s[20:21]                                   // 00000000CF7C: BEFE0114
	global_atomic_pk_add_bf16 v80, v64, s[8:9]                 // 00000000CF80: DD488000 00084050
	s_mov_b64 exec, s[36:37]                                   // 00000000CF88: BEFE0124
	s_mov_b64 exec, s[20:21]                                   // 00000000CF8C: BEFE0114
	global_atomic_pk_add_bf16 v80, v65, s[8:9] offset:256      // 00000000CF90: DD488100 00084150
	s_mov_b64 exec, s[36:37]                                   // 00000000CF98: BEFE0124
	s_mov_b64 exec, s[22:23]                                   // 00000000CF9C: BEFE0116
	global_atomic_pk_add_bf16 v82, v66, s[8:9]                 // 00000000CFA0: DD488000 00084252
	s_mov_b64 exec, s[36:37]                                   // 00000000CFA8: BEFE0124
	s_mov_b64 exec, s[22:23]                                   // 00000000CFAC: BEFE0116
	global_atomic_pk_add_bf16 v82, v67, s[8:9] offset:256      // 00000000CFB0: DD488100 00084352
	s_mov_b64 exec, s[36:37]                                   // 00000000CFB8: BEFE0124
	s_mov_b64 exec, s[24:25]                                   // 00000000CFBC: BEFE0118
	global_atomic_pk_add_bf16 v84, v68, s[8:9]                 // 00000000CFC0: DD488000 00084454
	s_mov_b64 exec, s[36:37]                                   // 00000000CFC8: BEFE0124
	s_mov_b64 exec, s[24:25]                                   // 00000000CFCC: BEFE0118
	global_atomic_pk_add_bf16 v84, v69, s[8:9] offset:256      // 00000000CFD0: DD488100 00084554
	s_mov_b64 exec, s[36:37]                                   // 00000000CFD8: BEFE0124
	s_mov_b64 exec, s[26:27]                                   // 00000000CFDC: BEFE011A
	global_atomic_pk_add_bf16 v86, v70, s[8:9]                 // 00000000CFE0: DD488000 00084656
	s_mov_b64 exec, s[36:37]                                   // 00000000CFE8: BEFE0124
	s_mov_b64 exec, s[26:27]                                   // 00000000CFEC: BEFE011A
	global_atomic_pk_add_bf16 v86, v71, s[8:9] offset:256      // 00000000CFF0: DD488100 00084756
	s_mov_b64 exec, s[36:37]                                   // 00000000CFF8: BEFE0124
	s_mov_b64 exec, s[28:29]                                   // 00000000CFFC: BEFE011C
	global_atomic_pk_add_bf16 v88, v72, s[8:9]                 // 00000000D000: DD488000 00084858
	s_mov_b64 exec, s[36:37]                                   // 00000000D008: BEFE0124
	s_mov_b64 exec, s[28:29]                                   // 00000000D00C: BEFE011C
	global_atomic_pk_add_bf16 v88, v73, s[8:9] offset:256      // 00000000D010: DD488100 00084958
	s_mov_b64 exec, s[36:37]                                   // 00000000D018: BEFE0124
	s_mov_b64 exec, s[30:31]                                   // 00000000D01C: BEFE011E
	global_atomic_pk_add_bf16 v90, v74, s[8:9]                 // 00000000D020: DD488000 00084A5A
	s_mov_b64 exec, s[36:37]                                   // 00000000D028: BEFE0124
	s_mov_b64 exec, s[30:31]                                   // 00000000D02C: BEFE011E
	global_atomic_pk_add_bf16 v90, v75, s[8:9] offset:256      // 00000000D030: DD488100 00084B5A
	s_mov_b64 exec, s[36:37]                                   // 00000000D038: BEFE0124
	s_mov_b64 exec, s[32:33]                                   // 00000000D03C: BEFE0120
	global_atomic_pk_add_bf16 v92, v76, s[8:9]                 // 00000000D040: DD488000 00084C5C
	s_mov_b64 exec, s[36:37]                                   // 00000000D048: BEFE0124
	s_mov_b64 exec, s[32:33]                                   // 00000000D04C: BEFE0120
	global_atomic_pk_add_bf16 v92, v77, s[8:9] offset:256      // 00000000D050: DD488100 00084D5C
	s_mov_b64 exec, s[36:37]                                   // 00000000D058: BEFE0124
	s_mov_b64 exec, s[34:35]                                   // 00000000D05C: BEFE0122
	global_atomic_pk_add_bf16 v94, v78, s[8:9]                 // 00000000D060: DD488000 00084E5E
	s_mov_b64 exec, s[36:37]                                   // 00000000D068: BEFE0124
	s_mov_b64 exec, s[34:35]                                   // 00000000D06C: BEFE0122
	global_atomic_pk_add_bf16 v94, v79, s[8:9] offset:256      // 00000000D070: DD488100 00084F5E
	s_mov_b64 exec, s[36:37]                                   // 00000000D078: BEFE0124
	s_add_u32 s8, s59, s8                                      // 00000000D07C: 8008083B
	s_addc_u32 s9, 0, s9                                       // 00000000D080: 82090980
	s_addk_i32 s80, 0x100                                      // 00000000D084: B7500100
	s_cmp_lt_i32 s80, s81                                      // 00000000D088: BF045150
	s_cbranch_scc0 label_15CC                                  // 00000000D08C: BF84ED28
	s_branch label_21EE                                        // 00000000D090: BF82F949

000000000000d094 <label_28A5>:
	s_waitcnt vmcnt(0) expcnt(0) lgkmcnt(0)                    // 00000000D094: BF8C0000
	s_add_u32 s100, s100, 1                                    // 00000000D098: 80648164
	s_cmp_eq_u32 s96, 0                                        // 00000000D09C: BF068060
	s_cbranch_scc0 label_0039                                  // 00000000D0A0: BF84D790

000000000000d0a4 <label_28A9>:
	s_waitcnt vmcnt(0) expcnt(0) lgkmcnt(0)                    // 00000000D0A4: BF8C0000
	s_endpgm                                                   // 00000000D0A8: BF810000
